;; amdgpu-corpus repo=ROCm/rocFFT kind=compiled arch=gfx950 opt=O3
	.text
	.amdgcn_target "amdgcn-amd-amdhsa--gfx950"
	.amdhsa_code_object_version 6
	.protected	fft_rtc_fwd_len1512_factors_2_2_2_3_3_3_7_wgs_63_tpt_63_halfLds_half_ip_CI_unitstride_sbrr_dirReg ; -- Begin function fft_rtc_fwd_len1512_factors_2_2_2_3_3_3_7_wgs_63_tpt_63_halfLds_half_ip_CI_unitstride_sbrr_dirReg
	.globl	fft_rtc_fwd_len1512_factors_2_2_2_3_3_3_7_wgs_63_tpt_63_halfLds_half_ip_CI_unitstride_sbrr_dirReg
	.p2align	8
	.type	fft_rtc_fwd_len1512_factors_2_2_2_3_3_3_7_wgs_63_tpt_63_halfLds_half_ip_CI_unitstride_sbrr_dirReg,@function
fft_rtc_fwd_len1512_factors_2_2_2_3_3_3_7_wgs_63_tpt_63_halfLds_half_ip_CI_unitstride_sbrr_dirReg: ; @fft_rtc_fwd_len1512_factors_2_2_2_3_3_3_7_wgs_63_tpt_63_halfLds_half_ip_CI_unitstride_sbrr_dirReg
; %bb.0:
	s_load_dwordx2 s[8:9], s[0:1], 0x50
	s_load_dwordx4 s[4:7], s[0:1], 0x0
	s_load_dwordx2 s[10:11], s[0:1], 0x18
	v_mul_u32_u24_e32 v1, 0x411, v0
	v_add_u32_sdwa v6, s2, v1 dst_sel:DWORD dst_unused:UNUSED_PAD src0_sel:DWORD src1_sel:WORD_1
	v_mov_b32_e32 v4, 0
	s_waitcnt lgkmcnt(0)
	v_cmp_lt_u64_e64 s[2:3], s[6:7], 2
	v_mov_b32_e32 v7, v4
	s_and_b64 vcc, exec, s[2:3]
	v_mov_b64_e32 v[2:3], 0
	s_cbranch_vccnz .LBB0_8
; %bb.1:
	s_load_dwordx2 s[2:3], s[0:1], 0x10
	s_add_u32 s12, s10, 8
	s_addc_u32 s13, s11, 0
	s_mov_b64 s[14:15], 1
	v_mov_b64_e32 v[2:3], 0
	s_waitcnt lgkmcnt(0)
	s_add_u32 s16, s2, 8
	s_addc_u32 s17, s3, 0
.LBB0_2:                                ; =>This Inner Loop Header: Depth=1
	s_load_dwordx2 s[18:19], s[16:17], 0x0
                                        ; implicit-def: $vgpr8_vgpr9
	s_waitcnt lgkmcnt(0)
	v_or_b32_e32 v5, s19, v7
	v_cmp_ne_u64_e32 vcc, 0, v[4:5]
	s_and_saveexec_b64 s[2:3], vcc
	s_xor_b64 s[20:21], exec, s[2:3]
	s_cbranch_execz .LBB0_4
; %bb.3:                                ;   in Loop: Header=BB0_2 Depth=1
	v_cvt_f32_u32_e32 v1, s18
	v_cvt_f32_u32_e32 v5, s19
	s_sub_u32 s2, 0, s18
	s_subb_u32 s3, 0, s19
	v_fmac_f32_e32 v1, 0x4f800000, v5
	v_rcp_f32_e32 v1, v1
	s_nop 0
	v_mul_f32_e32 v1, 0x5f7ffffc, v1
	v_mul_f32_e32 v5, 0x2f800000, v1
	v_trunc_f32_e32 v5, v5
	v_fmac_f32_e32 v1, 0xcf800000, v5
	v_cvt_u32_f32_e32 v5, v5
	v_cvt_u32_f32_e32 v1, v1
	v_mul_lo_u32 v8, s2, v5
	v_mul_hi_u32 v10, s2, v1
	v_mul_lo_u32 v9, s3, v1
	v_add_u32_e32 v10, v10, v8
	v_mul_lo_u32 v12, s2, v1
	v_add_u32_e32 v13, v10, v9
	v_mul_hi_u32 v8, v1, v12
	v_mul_hi_u32 v11, v1, v13
	v_mul_lo_u32 v10, v1, v13
	v_mov_b32_e32 v9, v4
	v_lshl_add_u64 v[8:9], v[8:9], 0, v[10:11]
	v_mul_hi_u32 v11, v5, v12
	v_mul_lo_u32 v12, v5, v12
	v_add_co_u32_e32 v8, vcc, v8, v12
	v_mul_hi_u32 v10, v5, v13
	s_nop 0
	v_addc_co_u32_e32 v8, vcc, v9, v11, vcc
	v_mov_b32_e32 v9, v4
	s_nop 0
	v_addc_co_u32_e32 v11, vcc, 0, v10, vcc
	v_mul_lo_u32 v10, v5, v13
	v_lshl_add_u64 v[8:9], v[8:9], 0, v[10:11]
	v_add_co_u32_e32 v1, vcc, v1, v8
	v_mul_lo_u32 v10, s2, v1
	s_nop 0
	v_addc_co_u32_e32 v5, vcc, v5, v9, vcc
	v_mul_lo_u32 v8, s2, v5
	v_mul_hi_u32 v9, s2, v1
	v_add_u32_e32 v8, v9, v8
	v_mul_lo_u32 v9, s3, v1
	v_add_u32_e32 v12, v8, v9
	v_mul_hi_u32 v14, v5, v10
	v_mul_lo_u32 v15, v5, v10
	v_mul_hi_u32 v9, v1, v12
	v_mul_lo_u32 v8, v1, v12
	v_mul_hi_u32 v10, v1, v10
	v_mov_b32_e32 v11, v4
	v_lshl_add_u64 v[8:9], v[10:11], 0, v[8:9]
	v_add_co_u32_e32 v8, vcc, v8, v15
	v_mul_hi_u32 v13, v5, v12
	s_nop 0
	v_addc_co_u32_e32 v8, vcc, v9, v14, vcc
	v_mul_lo_u32 v10, v5, v12
	s_nop 0
	v_addc_co_u32_e32 v11, vcc, 0, v13, vcc
	v_mov_b32_e32 v9, v4
	v_lshl_add_u64 v[8:9], v[8:9], 0, v[10:11]
	v_add_co_u32_e32 v1, vcc, v1, v8
	v_mul_hi_u32 v10, v6, v1
	s_nop 0
	v_addc_co_u32_e32 v5, vcc, v5, v9, vcc
	v_mad_u64_u32 v[8:9], s[2:3], v6, v5, 0
	v_mov_b32_e32 v11, v4
	v_lshl_add_u64 v[8:9], v[10:11], 0, v[8:9]
	v_mad_u64_u32 v[12:13], s[2:3], v7, v1, 0
	v_add_co_u32_e32 v1, vcc, v8, v12
	v_mad_u64_u32 v[10:11], s[2:3], v7, v5, 0
	s_nop 0
	v_addc_co_u32_e32 v8, vcc, v9, v13, vcc
	v_mov_b32_e32 v9, v4
	s_nop 0
	v_addc_co_u32_e32 v11, vcc, 0, v11, vcc
	v_lshl_add_u64 v[8:9], v[8:9], 0, v[10:11]
	v_mul_lo_u32 v1, s19, v8
	v_mul_lo_u32 v5, s18, v9
	v_mad_u64_u32 v[10:11], s[2:3], s18, v8, 0
	v_add3_u32 v1, v11, v5, v1
	v_sub_u32_e32 v5, v7, v1
	v_mov_b32_e32 v11, s19
	v_sub_co_u32_e32 v14, vcc, v6, v10
	v_lshl_add_u64 v[12:13], v[8:9], 0, 1
	s_nop 0
	v_subb_co_u32_e64 v5, s[2:3], v5, v11, vcc
	v_subrev_co_u32_e64 v10, s[2:3], s18, v14
	v_subb_co_u32_e32 v1, vcc, v7, v1, vcc
	s_nop 0
	v_subbrev_co_u32_e64 v5, s[2:3], 0, v5, s[2:3]
	v_cmp_le_u32_e64 s[2:3], s19, v5
	v_cmp_le_u32_e32 vcc, s19, v1
	s_nop 0
	v_cndmask_b32_e64 v11, 0, -1, s[2:3]
	v_cmp_le_u32_e64 s[2:3], s18, v10
	s_nop 1
	v_cndmask_b32_e64 v10, 0, -1, s[2:3]
	v_cmp_eq_u32_e64 s[2:3], s19, v5
	s_nop 1
	v_cndmask_b32_e64 v5, v11, v10, s[2:3]
	v_lshl_add_u64 v[10:11], v[8:9], 0, 2
	v_cmp_ne_u32_e64 s[2:3], 0, v5
	s_nop 1
	v_cndmask_b32_e64 v5, v13, v11, s[2:3]
	v_cndmask_b32_e64 v11, 0, -1, vcc
	v_cmp_le_u32_e32 vcc, s18, v14
	s_nop 1
	v_cndmask_b32_e64 v13, 0, -1, vcc
	v_cmp_eq_u32_e32 vcc, s19, v1
	s_nop 1
	v_cndmask_b32_e32 v1, v11, v13, vcc
	v_cmp_ne_u32_e32 vcc, 0, v1
	v_cndmask_b32_e64 v1, v12, v10, s[2:3]
	s_nop 0
	v_cndmask_b32_e32 v9, v9, v5, vcc
	v_cndmask_b32_e32 v8, v8, v1, vcc
.LBB0_4:                                ;   in Loop: Header=BB0_2 Depth=1
	s_andn2_saveexec_b64 s[2:3], s[20:21]
	s_cbranch_execz .LBB0_6
; %bb.5:                                ;   in Loop: Header=BB0_2 Depth=1
	v_cvt_f32_u32_e32 v1, s18
	s_sub_i32 s20, 0, s18
	v_rcp_iflag_f32_e32 v1, v1
	s_nop 0
	v_mul_f32_e32 v1, 0x4f7ffffe, v1
	v_cvt_u32_f32_e32 v1, v1
	v_mul_lo_u32 v5, s20, v1
	v_mul_hi_u32 v5, v1, v5
	v_add_u32_e32 v1, v1, v5
	v_mul_hi_u32 v1, v6, v1
	v_mul_lo_u32 v5, v1, s18
	v_sub_u32_e32 v5, v6, v5
	v_add_u32_e32 v8, 1, v1
	v_subrev_u32_e32 v9, s18, v5
	v_cmp_le_u32_e32 vcc, s18, v5
	s_nop 1
	v_cndmask_b32_e32 v5, v5, v9, vcc
	v_cndmask_b32_e32 v1, v1, v8, vcc
	v_add_u32_e32 v8, 1, v1
	v_cmp_le_u32_e32 vcc, s18, v5
	v_mov_b32_e32 v9, v4
	s_nop 0
	v_cndmask_b32_e32 v8, v1, v8, vcc
.LBB0_6:                                ;   in Loop: Header=BB0_2 Depth=1
	s_or_b64 exec, exec, s[2:3]
	v_mad_u64_u32 v[10:11], s[2:3], v8, s18, 0
	s_load_dwordx2 s[2:3], s[12:13], 0x0
	v_mul_lo_u32 v1, v9, s18
	v_mul_lo_u32 v5, v8, s19
	v_add3_u32 v1, v11, v5, v1
	v_sub_co_u32_e32 v5, vcc, v6, v10
	s_add_u32 s14, s14, 1
	s_nop 0
	v_subb_co_u32_e32 v1, vcc, v7, v1, vcc
	s_addc_u32 s15, s15, 0
	s_waitcnt lgkmcnt(0)
	v_mul_lo_u32 v1, s2, v1
	v_mul_lo_u32 v6, s3, v5
	v_mad_u64_u32 v[2:3], s[2:3], s2, v5, v[2:3]
	s_add_u32 s12, s12, 8
	v_add3_u32 v3, v6, v3, v1
	s_addc_u32 s13, s13, 0
	v_mov_b64_e32 v[6:7], s[6:7]
	s_add_u32 s16, s16, 8
	v_cmp_ge_u64_e32 vcc, s[14:15], v[6:7]
	s_addc_u32 s17, s17, 0
	s_cbranch_vccnz .LBB0_9
; %bb.7:                                ;   in Loop: Header=BB0_2 Depth=1
	v_mov_b64_e32 v[6:7], v[8:9]
	s_branch .LBB0_2
.LBB0_8:
	v_mov_b64_e32 v[8:9], v[6:7]
.LBB0_9:
	s_lshl_b64 s[2:3], s[6:7], 3
	s_add_u32 s2, s10, s2
	s_addc_u32 s3, s11, s3
	s_load_dwordx2 s[6:7], s[2:3], 0x0
	s_load_dwordx2 s[10:11], s[0:1], 0x20
	v_mov_b32_e32 v5, 0
	v_mov_b32_e32 v25, 0
	;; [unrolled: 1-line block ×3, first 2 shown]
	s_waitcnt lgkmcnt(0)
	v_mad_u64_u32 v[2:3], s[0:1], s6, v8, v[2:3]
	v_mul_lo_u32 v1, s6, v9
	v_mul_lo_u32 v4, s7, v8
	s_mov_b32 s0, 0x4104105
	v_add3_u32 v3, v4, v3, v1
	v_mul_hi_u32 v1, v0, s0
	v_mul_u32_u24_e32 v1, 63, v1
	v_cmp_gt_u64_e32 vcc, s[10:11], v[8:9]
	v_sub_u32_e32 v0, v0, v1
	v_lshl_add_u64 v[2:3], v[2:3], 2, s[8:9]
	v_mov_b32_e32 v20, 0
	v_mov_b32_e32 v18, 0
	;; [unrolled: 1-line block ×10, first 2 shown]
                                        ; implicit-def: $vgpr26
                                        ; implicit-def: $vgpr1
                                        ; implicit-def: $vgpr45
                                        ; implicit-def: $vgpr4
                                        ; implicit-def: $vgpr44
                                        ; implicit-def: $vgpr6
                                        ; implicit-def: $vgpr43
                                        ; implicit-def: $vgpr7
                                        ; implicit-def: $vgpr42
                                        ; implicit-def: $vgpr24
                                        ; implicit-def: $vgpr41
                                        ; implicit-def: $vgpr23
                                        ; implicit-def: $vgpr40
                                        ; implicit-def: $vgpr22
                                        ; implicit-def: $vgpr39
                                        ; implicit-def: $vgpr12
                                        ; implicit-def: $vgpr34
                                        ; implicit-def: $vgpr11
                                        ; implicit-def: $vgpr35
                                        ; implicit-def: $vgpr9
                                        ; implicit-def: $vgpr36
                                        ; implicit-def: $vgpr8
                                        ; implicit-def: $vgpr38
                                        ; implicit-def: $vgpr10
	s_and_saveexec_b64 s[2:3], vcc
	s_cbranch_execz .LBB0_11
; %bb.10:
	v_mov_b32_e32 v1, 0
	v_lshl_add_u64 v[26:27], v[0:1], 2, v[2:3]
	s_movk_i32 s0, 0x1000
	global_load_dword v1, v[26:27], off offset:3024
	global_load_dword v4, v[26:27], off offset:3276
	;; [unrolled: 1-line block ×4, first 2 shown]
	v_add_co_u32_e64 v28, s[0:1], s0, v26
	s_waitcnt vmcnt(2)
	v_lshrrev_b32_e32 v45, 16, v4
	v_addc_co_u32_e64 v29, s[0:1], 0, v27, s[0:1]
	global_load_dword v25, v[26:27], off
	global_load_dword v33, v[26:27], off offset:252
	global_load_dword v20, v[26:27], off offset:504
	global_load_dword v18, v[26:27], off offset:756
	global_load_dword v14, v[26:27], off offset:1008
	global_load_dword v13, v[26:27], off offset:1260
	global_load_dword v15, v[26:27], off offset:1512
	global_load_dword v16, v[26:27], off offset:1764
	global_load_dword v17, v[26:27], off offset:2016
	global_load_dword v19, v[26:27], off offset:2268
	global_load_dword v21, v[26:27], off offset:2520
	global_load_dword v24, v[26:27], off offset:4032
	global_load_dword v23, v[28:29], off offset:188
	global_load_dword v22, v[28:29], off offset:440
	global_load_dword v12, v[28:29], off offset:692
	global_load_dword v11, v[28:29], off offset:944
	global_load_dword v9, v[28:29], off offset:1196
	global_load_dword v8, v[28:29], off offset:1448
	global_load_dword v10, v[28:29], off offset:1700
	global_load_dword v37, v[26:27], off offset:2772
	v_lshrrev_b32_e32 v26, 16, v1
	s_waitcnt vmcnt(21)
	v_lshrrev_b32_e32 v44, 16, v6
	s_waitcnt vmcnt(20)
	;; [unrolled: 2-line block ×10, first 2 shown]
	v_lshrrev_b32_e32 v38, 16, v10
.LBB0_11:
	s_or_b64 exec, exec, s[2:3]
	v_lshrrev_b32_e32 v27, 16, v25
	v_sub_f16_e32 v1, v25, v1
	v_sub_f16_e32 v46, v27, v26
	v_fma_f16 v25, v25, 2.0, -v1
	v_sub_f16_e32 v26, v33, v4
	v_fma_f16 v47, v27, 2.0, -v46
	v_fma_f16 v27, v33, 2.0, -v26
	v_lshl_add_u32 v59, v0, 2, 0
	v_pack_b32_f16 v1, v25, v1
	v_add_u32_e32 v32, 63, v0
	v_sub_f16_e32 v6, v20, v6
	ds_write_b32 v59, v1
	v_lshl_add_u32 v60, v32, 2, 0
	v_pack_b32_f16 v1, v27, v26
	v_fma_f16 v28, v20, 2.0, -v6
	v_sub_f16_e32 v7, v18, v7
	ds_write_b32 v60, v1
	v_add_u32_e32 v1, 0x7e, v0
	v_fma_f16 v29, v18, 2.0, -v7
	v_sub_f16_e32 v24, v14, v24
	v_sub_f16_e32 v49, v15, v22
	v_lshl_add_u32 v61, v1, 2, 0
	v_pack_b32_f16 v6, v28, v6
	v_add_u32_e32 v22, 0xbd, v0
	v_fma_f16 v30, v14, 2.0, -v24
	v_sub_f16_e32 v23, v13, v23
	ds_write_b32 v61, v6
	v_lshl_add_u32 v62, v22, 2, 0
	v_pack_b32_f16 v6, v29, v7
	v_add_u32_e32 v31, 0xfc, v0
	v_fma_f16 v48, v13, 2.0, -v23
	v_sub_f16_e32 v12, v16, v12
	ds_write_b32 v62, v6
	v_add_u32_e32 v29, 0x13b, v0
	v_lshl_add_u32 v63, v31, 2, 0
	v_pack_b32_f16 v6, v30, v24
	v_fma_f16 v50, v15, 2.0, -v49
	v_fma_f16 v51, v16, 2.0, -v12
	v_sub_f16_e32 v11, v17, v11
	ds_write_b32 v63, v6
	v_lshl_add_u32 v64, v29, 2, 0
	v_pack_b32_f16 v6, v48, v23
	v_add_u32_e32 v28, 0x1b9, v0
	v_add_u32_e32 v30, 0x17a, v0
	v_fma_f16 v52, v17, 2.0, -v11
	v_sub_f16_e32 v53, v19, v9
	s_waitcnt vmcnt(0)
	v_sub_f16_e32 v57, v37, v10
	ds_write_b32 v64, v6
	v_lshl_add_u32 v48, v30, 2, 0
	v_pack_b32_f16 v6, v50, v49
	v_lshl_add_u32 v49, v28, 2, 0
	v_pack_b32_f16 v10, v51, v12
	v_add_u32_e32 v50, 0x1f8, v0
	v_fma_f16 v54, v19, 2.0, -v53
	v_sub_f16_e32 v55, v21, v8
	ds_write_b32 v48, v6
	ds_write_b32 v49, v10
	v_lshl_add_u32 v51, v50, 2, 0
	v_pack_b32_f16 v10, v52, v11
	v_add_u32_e32 v12, 0x237, v0
	v_fma_f16 v56, v21, 2.0, -v55
	ds_write_b32 v51, v10
	v_lshl_add_u32 v52, v12, 2, 0
	v_pack_b32_f16 v10, v54, v53
	v_add_u32_e32 v11, 0x276, v0
	v_lshrrev_b32_e32 v33, 16, v33
	ds_write_b32 v52, v10
	v_lshl_add_u32 v53, v11, 2, 0
	v_pack_b32_f16 v10, v56, v55
	v_sub_f16_e32 v45, v33, v45
	v_fma_f16 v58, v37, 2.0, -v57
	v_lshlrev_b32_e32 v8, 1, v30
	ds_write_b32 v53, v10
	v_add_u32_e32 v10, 0x2b5, v0
	v_fma_f16 v33, v33, 2.0, -v45
	v_lshlrev_b32_e32 v4, 1, v0
	v_lshlrev_b32_e32 v9, 1, v31
	v_lshlrev_b32_e32 v7, 1, v29
	v_lshlrev_b32_e32 v6, 1, v28
	v_lshl_add_u32 v54, v10, 2, 0
	v_pack_b32_f16 v23, v58, v57
	v_sub_u32_e32 v26, v48, v8
	v_pack_b32_f16 v33, v33, v45
	v_lshrrev_b32_e32 v20, 16, v20
	ds_write_b32 v54, v23
	s_waitcnt lgkmcnt(0)
	; wave barrier
	s_waitcnt lgkmcnt(0)
	v_add_u32_e32 v23, 0, v4
	v_add_u32_e32 v24, 0, v9
	;; [unrolled: 1-line block ×3, first 2 shown]
	v_sub_u32_e32 v27, v49, v6
	v_pack_b32_f16 v46, v47, v46
	ds_read_u16 v47, v26
	ds_read_u16 v55, v27
	ds_read_u16 v56, v23 offset:1512
	ds_read_u16 v57, v23 offset:1638
	;; [unrolled: 1-line block ×11, first 2 shown]
	ds_read_u16 v73, v23
	ds_read_u16 v74, v23 offset:126
	ds_read_u16 v75, v23 offset:252
	;; [unrolled: 1-line block ×7, first 2 shown]
	ds_read_u16 v81, v25
	ds_read_u16 v82, v24
	ds_read_u16 v83, v23 offset:2898
	s_waitcnt lgkmcnt(0)
	; wave barrier
	s_waitcnt lgkmcnt(0)
	ds_write_b32 v60, v33
	v_sub_f16_e32 v33, v20, v44
	v_fma_f16 v20, v20, 2.0, -v33
	v_pack_b32_f16 v20, v20, v33
	v_lshrrev_b32_e32 v18, 16, v18
	ds_write_b32 v61, v20
	v_sub_f16_e32 v20, v18, v43
	v_fma_f16 v18, v18, 2.0, -v20
	v_pack_b32_f16 v18, v18, v20
	v_lshrrev_b32_e32 v14, 16, v14
	;; [unrolled: 5-line block ×3, first 2 shown]
	ds_write_b32 v59, v46
	ds_write_b32 v63, v14
	v_sub_f16_e32 v14, v13, v41
	v_fma_f16 v13, v13, 2.0, -v14
	v_pack_b32_f16 v13, v13, v14
	ds_write_b32 v64, v13
	v_lshrrev_b32_e32 v13, 16, v15
	v_sub_f16_e32 v14, v13, v40
	v_fma_f16 v13, v13, 2.0, -v14
	v_pack_b32_f16 v13, v13, v14
	ds_write_b32 v48, v13
	v_lshrrev_b32_e32 v13, 16, v16
	;; [unrolled: 5-line block ×3, first 2 shown]
	v_sub_f16_e32 v14, v13, v34
	v_lshrrev_b32_e32 v15, 16, v19
	v_fma_f16 v13, v13, 2.0, -v14
	v_sub_f16_e32 v16, v15, v35
	v_lshrrev_b32_e32 v17, 16, v21
	v_fma_f16 v15, v15, 2.0, -v16
	v_sub_f16_e32 v18, v17, v36
	v_lshrrev_b32_e32 v19, 16, v37
	v_pack_b32_f16 v13, v13, v14
	v_fma_f16 v17, v17, 2.0, -v18
	v_sub_f16_e32 v20, v19, v38
	ds_write_b32 v51, v13
	v_pack_b32_f16 v13, v15, v16
	v_fma_f16 v19, v19, 2.0, -v20
	ds_write_b32 v52, v13
	v_pack_b32_f16 v13, v17, v18
	ds_write_b32 v53, v13
	v_pack_b32_f16 v13, v19, v20
	ds_write_b32 v54, v13
	v_and_b32_e32 v13, 1, v32
	v_lshlrev_b32_e32 v14, 2, v13
	v_and_b32_e32 v15, 1, v22
	s_waitcnt lgkmcnt(0)
	; wave barrier
	s_waitcnt lgkmcnt(0)
	global_load_dword v14, v14, s[4:5]
	v_lshlrev_b32_e32 v16, 2, v15
	global_load_dword v16, v16, s[4:5]
	v_and_b32_e32 v17, 1, v29
	v_lshlrev_b32_e32 v18, 2, v17
	global_load_dword v18, v18, s[4:5]
	v_and_b32_e32 v19, 1, v28
	;; [unrolled: 3-line block ×4, first 2 shown]
	v_and_b32_e32 v34, 1, v0
	v_lshlrev_b32_e32 v37, 2, v36
	v_lshlrev_b32_e32 v35, 2, v34
	global_load_dword v38, v37, s[4:5]
	global_load_dword v39, v35, s[4:5]
	ds_read_u16 v35, v23 offset:1638
	ds_read_u16 v37, v23 offset:1764
	;; [unrolled: 1-line block ×8, first 2 shown]
	s_movk_i32 s0, 0x7c
	s_movk_i32 s1, 0x2fc
	v_and_or_b32 v17, v7, s1, v17
	v_lshl_add_u32 v17, v17, 1, 0
	s_movk_i32 s1, 0x2f8
	s_movk_i32 s6, 0x3aee
	s_mov_b32 s7, 0xbaee
	s_waitcnt vmcnt(6) lgkmcnt(7)
	v_mul_f16_sdwa v46, v35, v14 dst_sel:DWORD dst_unused:UNUSED_PAD src0_sel:DWORD src1_sel:WORD_1
	v_mul_f16_sdwa v48, v57, v14 dst_sel:DWORD dst_unused:UNUSED_PAD src0_sel:DWORD src1_sel:WORD_1
	v_fma_f16 v46, v57, v14, -v46
	v_fma_f16 v14, v35, v14, v48
	s_waitcnt vmcnt(5) lgkmcnt(5)
	v_mul_f16_sdwa v35, v40, v16 dst_sel:DWORD dst_unused:UNUSED_PAD src0_sel:DWORD src1_sel:WORD_1
	v_mul_f16_sdwa v48, v65, v16 dst_sel:DWORD dst_unused:UNUSED_PAD src0_sel:DWORD src1_sel:WORD_1
	v_fma_f16 v35, v65, v16, -v35
	v_fma_f16 v16, v40, v16, v48
	;; [unrolled: 5-line block ×4, first 2 shown]
	ds_read_u16 v44, v23 offset:2646
	ds_read_u16 v48, v23 offset:2772
	;; [unrolled: 1-line block ×3, first 2 shown]
	ds_read_u16 v51, v26
	ds_read_u16 v52, v27
	;; [unrolled: 1-line block ×4, first 2 shown]
	ds_read_u16 v57, v23 offset:2520
	s_waitcnt vmcnt(2) lgkmcnt(7)
	v_mul_f16_sdwa v59, v44, v33 dst_sel:DWORD dst_unused:UNUSED_PAD src0_sel:DWORD src1_sel:WORD_1
	v_mul_f16_sdwa v60, v71, v33 dst_sel:DWORD dst_unused:UNUSED_PAD src0_sel:DWORD src1_sel:WORD_1
	v_fma_f16 v59, v71, v33, -v59
	v_fma_f16 v33, v44, v33, v60
	s_waitcnt vmcnt(0)
	v_mul_f16_sdwa v44, v45, v39 dst_sel:DWORD dst_unused:UNUSED_PAD src0_sel:DWORD src1_sel:WORD_1
	v_fma_f16 v44, v56, v39, -v44
	v_mul_f16_sdwa v56, v56, v39 dst_sel:DWORD dst_unused:UNUSED_PAD src0_sel:DWORD src1_sel:WORD_1
	v_fma_f16 v45, v45, v39, v56
	v_mul_f16_sdwa v56, v37, v39 dst_sel:DWORD dst_unused:UNUSED_PAD src0_sel:DWORD src1_sel:WORD_1
	v_fma_f16 v56, v58, v39, -v56
	v_mul_f16_sdwa v58, v58, v39 dst_sel:DWORD dst_unused:UNUSED_PAD src0_sel:DWORD src1_sel:WORD_1
	v_mul_f16_sdwa v60, v66, v39 dst_sel:DWORD dst_unused:UNUSED_PAD src0_sel:DWORD src1_sel:WORD_1
	;; [unrolled: 1-line block ×4, first 2 shown]
	v_fma_f16 v37, v37, v39, v58
	v_mul_f16_sdwa v58, v41, v39 dst_sel:DWORD dst_unused:UNUSED_PAD src0_sel:DWORD src1_sel:WORD_1
	v_fma_f16 v41, v41, v39, v60
	v_mul_f16_sdwa v60, v43, v39 dst_sel:DWORD dst_unused:UNUSED_PAD src0_sel:DWORD src1_sel:WORD_1
	v_fma_f16 v43, v43, v39, v61
	s_waitcnt lgkmcnt(0)
	v_mul_f16_sdwa v61, v57, v39 dst_sel:DWORD dst_unused:UNUSED_PAD src0_sel:DWORD src1_sel:WORD_1
	v_fma_f16 v57, v57, v39, v62
	v_mul_f16_sdwa v62, v48, v39 dst_sel:DWORD dst_unused:UNUSED_PAD src0_sel:DWORD src1_sel:WORD_1
	v_mul_f16_sdwa v63, v72, v39 dst_sel:DWORD dst_unused:UNUSED_PAD src0_sel:DWORD src1_sel:WORD_1
	v_fma_f16 v58, v66, v39, -v58
	v_fma_f16 v60, v68, v39, -v60
	;; [unrolled: 1-line block ×4, first 2 shown]
	v_fma_f16 v39, v48, v39, v63
	v_mul_f16_sdwa v48, v49, v38 dst_sel:DWORD dst_unused:UNUSED_PAD src0_sel:DWORD src1_sel:WORD_1
	v_mul_f16_sdwa v63, v83, v38 dst_sel:DWORD dst_unused:UNUSED_PAD src0_sel:DWORD src1_sel:WORD_1
	v_sub_f16_e32 v44, v73, v44
	v_and_or_b32 v71, v4, s0, v34
	v_fma_f16 v48, v83, v38, -v48
	v_fma_f16 v38, v49, v38, v63
	v_fma_f16 v49, v73, 2.0, -v44
	v_lshl_add_u32 v71, v71, 1, 0
	ds_read_u16 v63, v23
	ds_read_u16 v64, v23 offset:126
	ds_read_u16 v65, v23 offset:252
	;; [unrolled: 1-line block ×7, first 2 shown]
	s_waitcnt lgkmcnt(0)
	; wave barrier
	s_waitcnt lgkmcnt(0)
	ds_write_b16 v71, v49
	ds_write_b16 v71, v44 offset:4
	s_movk_i32 s0, 0xfc
	v_lshlrev_b32_e32 v49, 1, v32
	v_sub_f16_e32 v44, v74, v46
	v_and_or_b32 v13, v49, s0, v13
	v_fma_f16 v46, v74, 2.0, -v44
	v_lshl_add_u32 v13, v13, 1, 0
	ds_write_b16 v13, v46
	ds_write_b16 v13, v44 offset:4
	v_sub_f16_e32 v44, v75, v56
	s_movk_i32 s0, 0x1fc
	v_lshlrev_b32_e32 v56, 1, v1
	v_and_or_b32 v72, v56, s0, v34
	v_fma_f16 v46, v75, 2.0, -v44
	v_lshl_add_u32 v72, v72, 1, 0
	ds_write_b16 v72, v46
	ds_write_b16 v72, v44 offset:4
	v_lshlrev_b32_e32 v46, 1, v22
	v_sub_f16_e32 v35, v76, v35
	v_and_or_b32 v15, v46, s0, v15
	v_fma_f16 v44, v76, 2.0, -v35
	v_lshl_add_u32 v15, v15, 1, 0
	s_movk_i32 s0, 0x3fc
	ds_write_b16 v15, v44
	ds_write_b16 v15, v35 offset:4
	v_sub_f16_e32 v35, v82, v58
	v_and_or_b32 v58, v9, s0, v34
	v_fma_f16 v44, v82, 2.0, -v35
	v_lshl_add_u32 v58, v58, 1, 0
	ds_write_b16 v58, v44
	ds_write_b16 v58, v35 offset:4
	v_sub_f16_e32 v35, v81, v40
	v_fma_f16 v40, v81, 2.0, -v35
	ds_write_b16 v17, v40
	ds_write_b16 v17, v35 offset:4
	v_sub_f16_e32 v35, v47, v60
	v_and_or_b32 v44, v8, s0, v34
	v_fma_f16 v40, v47, 2.0, -v35
	v_lshl_add_u32 v44, v44, 1, 0
	ds_write_b16 v44, v40
	ds_write_b16 v44, v35 offset:4
	v_sub_f16_e32 v35, v55, v42
	v_and_or_b32 v19, v6, s0, v19
	v_fma_f16 v40, v55, 2.0, -v35
	v_lshl_add_u32 v19, v19, 1, 0
	ds_write_b16 v19, v40
	ds_write_b16 v19, v35 offset:4
	v_lshlrev_b32_e32 v35, 1, v50
	s_movk_i32 s0, 0x7fc
	v_sub_f16_e32 v40, v77, v61
	v_and_or_b32 v47, v35, s0, v34
	v_fma_f16 v42, v77, 2.0, -v40
	v_lshl_add_u32 v47, v47, 1, 0
	s_movk_i32 s0, 0x4fc
	v_lshlrev_b32_e32 v50, 1, v12
	ds_write_b16 v47, v42
	ds_write_b16 v47, v40 offset:4
	v_sub_f16_e32 v40, v78, v59
	v_and_or_b32 v21, v50, s0, v21
	v_fma_f16 v42, v78, 2.0, -v40
	v_lshl_add_u32 v21, v21, 1, 0
	s_movk_i32 s0, 0x5fc
	v_lshlrev_b32_e32 v55, 1, v11
	ds_write_b16 v21, v42
	ds_write_b16 v21, v40 offset:4
	v_sub_f16_e32 v40, v79, v62
	v_and_or_b32 v34, v55, s0, v34
	v_fma_f16 v42, v79, 2.0, -v40
	v_lshl_add_u32 v34, v34, 1, 0
	ds_write_b16 v34, v42
	ds_write_b16 v34, v40 offset:4
	v_sub_f16_e32 v40, v80, v48
	v_lshlrev_b32_e32 v48, 1, v10
	v_and_or_b32 v36, v48, s0, v36
	v_fma_f16 v42, v80, 2.0, -v40
	v_lshl_add_u32 v36, v36, 1, 0
	ds_write_b16 v36, v42
	ds_write_b16 v36, v40 offset:4
	v_sub_f16_e32 v40, v63, v45
	v_fma_f16 v42, v63, 2.0, -v40
	v_sub_f16_e32 v14, v64, v14
	s_waitcnt lgkmcnt(0)
	; wave barrier
	s_waitcnt lgkmcnt(0)
	ds_read_u16 v45, v26
	ds_read_u16 v59, v27
	ds_read_u16 v60, v23 offset:1512
	ds_read_u16 v61, v23 offset:1638
	;; [unrolled: 1-line block ×11, first 2 shown]
	ds_read_u16 v80, v23
	ds_read_u16 v81, v23 offset:126
	ds_read_u16 v82, v23 offset:252
	;; [unrolled: 1-line block ×7, first 2 shown]
	ds_read_u16 v88, v25
	ds_read_u16 v89, v24
	ds_read_u16 v90, v23 offset:2898
	s_waitcnt lgkmcnt(0)
	; wave barrier
	s_waitcnt lgkmcnt(0)
	ds_write_b16 v71, v42
	ds_write_b16 v71, v40 offset:4
	v_fma_f16 v40, v64, 2.0, -v14
	ds_write_b16 v13, v40
	ds_write_b16 v13, v14 offset:4
	v_sub_f16_e32 v13, v65, v37
	v_fma_f16 v14, v65, 2.0, -v13
	ds_write_b16 v72, v14
	ds_write_b16 v72, v13 offset:4
	v_sub_f16_e32 v13, v66, v16
	;; [unrolled: 4-line block ×9, first 2 shown]
	v_fma_f16 v14, v69, 2.0, -v13
	v_sub_f16_e32 v15, v70, v38
	v_fma_f16 v16, v70, 2.0, -v15
	ds_write_b16 v34, v14
	ds_write_b16 v34, v13 offset:4
	ds_write_b16 v36, v16
	ds_write_b16 v36, v15 offset:4
	v_and_b32_e32 v13, 3, v32
	v_lshlrev_b32_e32 v14, 2, v13
	v_and_b32_e32 v15, 3, v1
	s_waitcnt lgkmcnt(0)
	; wave barrier
	s_waitcnt lgkmcnt(0)
	global_load_dword v14, v14, s[4:5] offset:8
	v_lshlrev_b32_e32 v16, 2, v15
	global_load_dword v16, v16, s[4:5] offset:8
	v_and_b32_e32 v17, 3, v22
	v_lshlrev_b32_e32 v18, 2, v17
	global_load_dword v18, v18, s[4:5] offset:8
	v_and_b32_e32 v19, 3, v29
	;; [unrolled: 3-line block ×5, first 2 shown]
	v_and_b32_e32 v37, 3, v0
	v_lshlrev_b32_e32 v39, 2, v12
	v_lshlrev_b32_e32 v38, 2, v37
	global_load_dword v40, v39, s[4:5] offset:8
	global_load_dword v41, v38, s[4:5] offset:8
	v_and_b32_e32 v11, 3, v11
	v_lshlrev_b32_e32 v38, 2, v11
	v_and_b32_e32 v10, 3, v10
	global_load_dword v38, v38, s[4:5] offset:8
	v_lshlrev_b32_e32 v39, 2, v10
	global_load_dword v39, v39, s[4:5] offset:8
	ds_read_u16 v42, v23 offset:1638
	ds_read_u16 v43, v23 offset:1764
	;; [unrolled: 1-line block ×8, first 2 shown]
	s_movk_i32 s0, 0x78
	v_and_or_b32 v7, v7, s1, v19
	v_lshl_add_u32 v7, v7, 1, 0
	s_movk_i32 s1, 0x90
	s_waitcnt vmcnt(9) lgkmcnt(7)
	v_mul_f16_sdwa v57, v42, v14 dst_sel:DWORD dst_unused:UNUSED_PAD src0_sel:DWORD src1_sel:WORD_1
	v_mul_f16_sdwa v58, v61, v14 dst_sel:DWORD dst_unused:UNUSED_PAD src0_sel:DWORD src1_sel:WORD_1
	v_fma_f16 v57, v61, v14, -v57
	v_fma_f16 v14, v42, v14, v58
	s_waitcnt vmcnt(8) lgkmcnt(6)
	v_mul_f16_sdwa v42, v43, v16 dst_sel:DWORD dst_unused:UNUSED_PAD src0_sel:DWORD src1_sel:WORD_1
	v_mul_f16_sdwa v58, v62, v16 dst_sel:DWORD dst_unused:UNUSED_PAD src0_sel:DWORD src1_sel:WORD_1
	v_fma_f16 v42, v62, v16, -v42
	v_fma_f16 v16, v43, v16, v58
	;; [unrolled: 5-line block ×4, first 2 shown]
	s_waitcnt vmcnt(5)
	v_mul_f16_sdwa v52, v47, v33 dst_sel:DWORD dst_unused:UNUSED_PAD src0_sel:DWORD src1_sel:WORD_1
	v_mul_f16_sdwa v58, v75, v33 dst_sel:DWORD dst_unused:UNUSED_PAD src0_sel:DWORD src1_sel:WORD_1
	v_fma_f16 v52, v75, v33, -v52
	v_fma_f16 v47, v47, v33, v58
	s_waitcnt vmcnt(4)
	v_mul_f16_sdwa v33, v51, v36 dst_sel:DWORD dst_unused:UNUSED_PAD src0_sel:DWORD src1_sel:WORD_1
	v_mul_f16_sdwa v58, v76, v36 dst_sel:DWORD dst_unused:UNUSED_PAD src0_sel:DWORD src1_sel:WORD_1
	v_fma_f16 v33, v76, v36, -v33
	v_fma_f16 v51, v51, v36, v58
	s_waitcnt vmcnt(2) lgkmcnt(0)
	v_mul_f16_sdwa v36, v54, v41 dst_sel:DWORD dst_unused:UNUSED_PAD src0_sel:DWORD src1_sel:WORD_1
	v_fma_f16 v36, v60, v41, -v36
	v_mul_f16_sdwa v58, v60, v41 dst_sel:DWORD dst_unused:UNUSED_PAD src0_sel:DWORD src1_sel:WORD_1
	v_mul_f16_sdwa v60, v73, v41 dst_sel:DWORD dst_unused:UNUSED_PAD src0_sel:DWORD src1_sel:WORD_1
	v_fma_f16 v54, v54, v41, v58
	v_mul_f16_sdwa v58, v53, v41 dst_sel:DWORD dst_unused:UNUSED_PAD src0_sel:DWORD src1_sel:WORD_1
	v_fma_f16 v53, v53, v41, v60
	ds_read_u16 v60, v23 offset:2520
	ds_read_u16 v61, v23 offset:2646
	;; [unrolled: 1-line block ×4, first 2 shown]
	ds_read_u16 v64, v26
	ds_read_u16 v65, v27
	;; [unrolled: 1-line block ×4, first 2 shown]
	s_waitcnt lgkmcnt(7)
	v_mul_f16_sdwa v68, v60, v41 dst_sel:DWORD dst_unused:UNUSED_PAD src0_sel:DWORD src1_sel:WORD_1
	v_mul_f16_sdwa v69, v77, v41 dst_sel:DWORD dst_unused:UNUSED_PAD src0_sel:DWORD src1_sel:WORD_1
	v_fma_f16 v58, v73, v41, -v58
	v_fma_f16 v68, v77, v41, -v68
	v_fma_f16 v41, v60, v41, v69
	s_waitcnt lgkmcnt(6)
	v_mul_f16_sdwa v60, v61, v40 dst_sel:DWORD dst_unused:UNUSED_PAD src0_sel:DWORD src1_sel:WORD_1
	v_mul_f16_sdwa v69, v78, v40 dst_sel:DWORD dst_unused:UNUSED_PAD src0_sel:DWORD src1_sel:WORD_1
	v_fma_f16 v60, v78, v40, -v60
	v_fma_f16 v61, v61, v40, v69
	s_waitcnt vmcnt(1) lgkmcnt(5)
	v_mul_f16_sdwa v40, v62, v38 dst_sel:DWORD dst_unused:UNUSED_PAD src0_sel:DWORD src1_sel:WORD_1
	v_mul_f16_sdwa v69, v79, v38 dst_sel:DWORD dst_unused:UNUSED_PAD src0_sel:DWORD src1_sel:WORD_1
	v_fma_f16 v40, v79, v38, -v40
	v_fma_f16 v62, v62, v38, v69
	s_waitcnt vmcnt(0) lgkmcnt(4)
	v_mul_f16_sdwa v38, v63, v39 dst_sel:DWORD dst_unused:UNUSED_PAD src0_sel:DWORD src1_sel:WORD_1
	v_mul_f16_sdwa v69, v90, v39 dst_sel:DWORD dst_unused:UNUSED_PAD src0_sel:DWORD src1_sel:WORD_1
	v_sub_f16_e32 v36, v80, v36
	v_and_or_b32 v77, v4, s0, v37
	v_fma_f16 v38, v90, v39, -v38
	v_fma_f16 v63, v63, v39, v69
	v_fma_f16 v39, v80, 2.0, -v36
	v_lshl_add_u32 v77, v77, 1, 0
	s_movk_i32 s0, 0xf8
	ds_read_u16 v69, v23
	ds_read_u16 v70, v23 offset:126
	ds_read_u16 v71, v23 offset:252
	;; [unrolled: 1-line block ×7, first 2 shown]
	s_waitcnt lgkmcnt(0)
	; wave barrier
	s_waitcnt lgkmcnt(0)
	ds_write_b16 v77, v39
	ds_write_b16 v77, v36 offset:8
	v_and_or_b32 v13, v49, s0, v13
	v_sub_f16_e32 v36, v81, v57
	v_fma_f16 v39, v81, 2.0, -v36
	v_lshl_add_u32 v13, v13, 1, 0
	s_movk_i32 s0, 0x1f8
	ds_write_b16 v13, v39
	ds_write_b16 v13, v36 offset:8
	v_and_or_b32 v15, v56, s0, v15
	v_sub_f16_e32 v36, v82, v42
	v_fma_f16 v39, v82, 2.0, -v36
	v_lshl_add_u32 v15, v15, 1, 0
	ds_write_b16 v15, v39
	ds_write_b16 v15, v36 offset:8
	v_and_or_b32 v17, v46, s0, v17
	v_sub_f16_e32 v36, v83, v43
	v_fma_f16 v39, v83, 2.0, -v36
	v_lshl_add_u32 v17, v17, 1, 0
	s_movk_i32 s0, 0x3f8
	ds_write_b16 v17, v39
	ds_write_b16 v17, v36 offset:8
	v_sub_f16_e32 v36, v89, v58
	v_and_or_b32 v9, v9, s0, v37
	v_fma_f16 v39, v89, 2.0, -v36
	v_lshl_add_u32 v9, v9, 1, 0
	v_sub_f16_e32 v19, v88, v44
	ds_write_b16 v9, v39
	ds_write_b16 v9, v36 offset:8
	v_fma_f16 v36, v88, 2.0, -v19
	ds_write_b16 v7, v36
	ds_write_b16 v7, v19 offset:8
	v_and_or_b32 v8, v8, s0, v21
	v_sub_f16_e32 v19, v45, v52
	v_fma_f16 v21, v45, 2.0, -v19
	v_lshl_add_u32 v8, v8, 1, 0
	ds_write_b16 v8, v21
	ds_write_b16 v8, v19 offset:8
	v_and_or_b32 v6, v6, s0, v34
	v_sub_f16_e32 v19, v59, v33
	v_fma_f16 v21, v59, 2.0, -v19
	v_lshl_add_u32 v6, v6, 1, 0
	s_movk_i32 s0, 0x7f8
	ds_write_b16 v6, v21
	ds_write_b16 v6, v19 offset:8
	v_and_or_b32 v19, v35, s0, v37
	v_sub_f16_e32 v21, v84, v68
	s_movk_i32 s0, 0x4f8
	v_fma_f16 v33, v84, 2.0, -v21
	v_lshl_add_u32 v19, v19, 1, 0
	v_and_or_b32 v12, v50, s0, v12
	s_movk_i32 s0, 0x5f8
	ds_write_b16 v19, v33
	ds_write_b16 v19, v21 offset:8
	v_sub_f16_e32 v21, v69, v54
	v_sub_f16_e32 v33, v85, v60
	;; [unrolled: 1-line block ×4, first 2 shown]
	v_and_or_b32 v11, v55, s0, v11
	v_and_or_b32 v10, v48, s0, v10
	v_fma_f16 v42, v69, 2.0, -v21
	v_fma_f16 v34, v85, 2.0, -v33
	;; [unrolled: 1-line block ×4, first 2 shown]
	v_lshl_add_u32 v12, v12, 1, 0
	v_lshl_add_u32 v11, v11, 1, 0
	;; [unrolled: 1-line block ×3, first 2 shown]
	v_sub_f16_e32 v14, v70, v14
	ds_write_b16 v12, v34
	ds_write_b16 v12, v33 offset:8
	ds_write_b16 v11, v36
	ds_write_b16 v11, v35 offset:8
	;; [unrolled: 2-line block ×3, first 2 shown]
	s_waitcnt lgkmcnt(0)
	; wave barrier
	s_waitcnt lgkmcnt(0)
	ds_read_u16 v40, v23
	ds_read_u16 v33, v23 offset:126
	ds_read_u16 v37, v23 offset:252
	;; [unrolled: 1-line block ×15, first 2 shown]
	ds_read_u16 v35, v26
	ds_read_u16 v34, v27
	ds_read_u16 v58, v23 offset:2142
	ds_read_u16 v59, v23 offset:2016
	;; [unrolled: 1-line block ×3, first 2 shown]
	ds_read_u16 v38, v25
	ds_read_u16 v39, v24
	ds_read_u16 v68, v23 offset:2898
	s_waitcnt lgkmcnt(0)
	; wave barrier
	s_waitcnt lgkmcnt(0)
	ds_write_b16 v77, v42
	ds_write_b16 v77, v21 offset:8
	v_fma_f16 v21, v70, 2.0, -v14
	ds_write_b16 v13, v21
	ds_write_b16 v13, v14 offset:8
	v_sub_f16_e32 v13, v71, v16
	v_fma_f16 v14, v71, 2.0, -v13
	ds_write_b16 v15, v14
	ds_write_b16 v15, v13 offset:8
	v_sub_f16_e32 v13, v72, v18
	;; [unrolled: 4-line block ×4, first 2 shown]
	v_fma_f16 v13, v66, 2.0, -v9
	ds_write_b16 v7, v13
	v_sub_f16_e32 v13, v64, v47
	v_sub_f16_e32 v15, v65, v51
	;; [unrolled: 1-line block ×6, first 2 shown]
	v_fma_f16 v14, v64, 2.0, -v13
	v_fma_f16 v16, v65, 2.0, -v15
	;; [unrolled: 1-line block ×6, first 2 shown]
	ds_write_b16 v7, v9 offset:8
	ds_write_b16 v8, v14
	ds_write_b16 v8, v13 offset:8
	ds_write_b16 v6, v16
	;; [unrolled: 2-line block ×6, first 2 shown]
	ds_write_b16 v10, v47 offset:8
	v_and_b32_e32 v41, 7, v0
	v_lshlrev_b32_e32 v6, 3, v41
	s_waitcnt lgkmcnt(0)
	; wave barrier
	s_waitcnt lgkmcnt(0)
	global_load_dwordx2 v[6:7], v6, s[4:5] offset:24
	v_and_b32_e32 v42, 7, v32
	v_lshlrev_b32_e32 v8, 3, v42
	global_load_dwordx2 v[8:9], v8, s[4:5] offset:24
	v_and_b32_e32 v47, 7, v1
	v_lshlrev_b32_e32 v10, 3, v47
	;; [unrolled: 3-line block ×7, first 2 shown]
	global_load_dwordx2 v[20:21], v20, s[4:5] offset:24
	ds_read_u16 v64, v23 offset:1008
	ds_read_u16 v65, v23 offset:1134
	;; [unrolled: 1-line block ×5, first 2 shown]
	s_movk_i32 s0, 0xab
	s_waitcnt vmcnt(7) lgkmcnt(4)
	v_mul_f16_sdwa v70, v64, v6 dst_sel:DWORD dst_unused:UNUSED_PAD src0_sel:DWORD src1_sel:WORD_1
	v_fma_f16 v70, v46, v6, -v70
	v_mul_f16_sdwa v46, v46, v6 dst_sel:DWORD dst_unused:UNUSED_PAD src0_sel:DWORD src1_sel:WORD_1
	v_fma_f16 v6, v64, v6, v46
	ds_read_u16 v46, v23 offset:2016
	ds_read_u16 v64, v23 offset:2142
	;; [unrolled: 1-line block ×5, first 2 shown]
	s_waitcnt lgkmcnt(4)
	v_mul_f16_sdwa v74, v46, v7 dst_sel:DWORD dst_unused:UNUSED_PAD src0_sel:DWORD src1_sel:WORD_1
	v_fma_f16 v74, v59, v7, -v74
	v_mul_f16_sdwa v59, v59, v7 dst_sel:DWORD dst_unused:UNUSED_PAD src0_sel:DWORD src1_sel:WORD_1
	v_fma_f16 v7, v46, v7, v59
	s_waitcnt vmcnt(6)
	v_mul_f16_sdwa v46, v65, v8 dst_sel:DWORD dst_unused:UNUSED_PAD src0_sel:DWORD src1_sel:WORD_1
	v_fma_f16 v59, v45, v8, -v46
	v_mul_f16_sdwa v45, v45, v8 dst_sel:DWORD dst_unused:UNUSED_PAD src0_sel:DWORD src1_sel:WORD_1
	v_fma_f16 v8, v65, v8, v45
	s_waitcnt lgkmcnt(3)
	v_mul_f16_sdwa v45, v64, v9 dst_sel:DWORD dst_unused:UNUSED_PAD src0_sel:DWORD src1_sel:WORD_1
	v_fma_f16 v65, v58, v9, -v45
	v_mul_f16_sdwa v45, v58, v9 dst_sel:DWORD dst_unused:UNUSED_PAD src0_sel:DWORD src1_sel:WORD_1
	v_fma_f16 v9, v64, v9, v45
	s_waitcnt vmcnt(5)
	v_mul_f16_sdwa v45, v66, v10 dst_sel:DWORD dst_unused:UNUSED_PAD src0_sel:DWORD src1_sel:WORD_1
	v_fma_f16 v58, v43, v10, -v45
	v_mul_f16_sdwa v43, v43, v10 dst_sel:DWORD dst_unused:UNUSED_PAD src0_sel:DWORD src1_sel:WORD_1
	v_fma_f16 v10, v66, v10, v43
	;; [unrolled: 10-line block ×3, first 2 shown]
	s_waitcnt lgkmcnt(1)
	v_mul_f16_sdwa v43, v72, v13 dst_sel:DWORD dst_unused:UNUSED_PAD src0_sel:DWORD src1_sel:WORD_1
	v_fma_f16 v67, v49, v13, -v43
	ds_read_u16 v43, v23 offset:1512
	v_mul_f16_sdwa v44, v49, v13 dst_sel:DWORD dst_unused:UNUSED_PAD src0_sel:DWORD src1_sel:WORD_1
	v_fma_f16 v13, v72, v13, v44
	ds_read_u16 v44, v23 offset:1638
	ds_read_u16 v45, v23 offset:1764
	s_waitcnt vmcnt(3) lgkmcnt(2)
	v_mul_f16_sdwa v46, v43, v14 dst_sel:DWORD dst_unused:UNUSED_PAD src0_sel:DWORD src1_sel:WORD_1
	v_fma_f16 v71, v50, v14, -v46
	v_mul_f16_sdwa v46, v50, v14 dst_sel:DWORD dst_unused:UNUSED_PAD src0_sel:DWORD src1_sel:WORD_1
	v_fma_f16 v14, v43, v14, v46
	ds_read_u16 v43, v23 offset:2520
	ds_read_u16 v46, v23 offset:2646
	;; [unrolled: 1-line block ×4, first 2 shown]
	ds_read_u16 v72, v26
	ds_read_u16 v75, v27
	;; [unrolled: 1-line block ×4, first 2 shown]
	s_waitcnt lgkmcnt(7)
	v_mul_f16_sdwa v50, v43, v15 dst_sel:DWORD dst_unused:UNUSED_PAD src0_sel:DWORD src1_sel:WORD_1
	v_fma_f16 v78, v55, v15, -v50
	v_mul_f16_sdwa v50, v55, v15 dst_sel:DWORD dst_unused:UNUSED_PAD src0_sel:DWORD src1_sel:WORD_1
	v_fma_f16 v15, v43, v15, v50
	s_waitcnt vmcnt(2)
	v_mul_f16_sdwa v43, v44, v16 dst_sel:DWORD dst_unused:UNUSED_PAD src0_sel:DWORD src1_sel:WORD_1
	v_fma_f16 v55, v52, v16, -v43
	v_mul_f16_sdwa v43, v52, v16 dst_sel:DWORD dst_unused:UNUSED_PAD src0_sel:DWORD src1_sel:WORD_1
	v_fma_f16 v16, v44, v16, v43
	s_waitcnt lgkmcnt(6)
	v_mul_f16_sdwa v43, v46, v17 dst_sel:DWORD dst_unused:UNUSED_PAD src0_sel:DWORD src1_sel:WORD_1
	v_fma_f16 v79, v56, v17, -v43
	v_mul_f16_sdwa v43, v56, v17 dst_sel:DWORD dst_unused:UNUSED_PAD src0_sel:DWORD src1_sel:WORD_1
	v_fma_f16 v17, v46, v17, v43
	s_waitcnt vmcnt(1)
	v_mul_f16_sdwa v43, v45, v18 dst_sel:DWORD dst_unused:UNUSED_PAD src0_sel:DWORD src1_sel:WORD_1
	v_fma_f16 v56, v54, v18, -v43
	v_mul_f16_sdwa v43, v54, v18 dst_sel:DWORD dst_unused:UNUSED_PAD src0_sel:DWORD src1_sel:WORD_1
	v_fma_f16 v18, v45, v18, v43
	;; [unrolled: 10-line block ×3, first 2 shown]
	s_waitcnt lgkmcnt(4)
	v_mul_f16_sdwa v19, v49, v21 dst_sel:DWORD dst_unused:UNUSED_PAD src0_sel:DWORD src1_sel:WORD_1
	v_fma_f16 v73, v68, v21, -v19
	v_mul_f16_sdwa v19, v68, v21 dst_sel:DWORD dst_unused:UNUSED_PAD src0_sel:DWORD src1_sel:WORD_1
	v_fma_f16 v68, v49, v21, v19
	ds_read_u16 v21, v23
	v_add_f16_e32 v19, v70, v74
	v_fma_f16 v19, v19, -0.5, v40
	v_sub_f16_e32 v20, v6, v7
	v_fma_f16 v43, v20, s6, v19
	v_fma_f16 v19, v20, s7, v19
	s_waitcnt lgkmcnt(0)
	v_add_f16_e32 v20, v21, v6
	v_add_f16_e32 v6, v6, v7
	v_add_f16_e32 v84, v20, v7
	v_fma_f16 v6, v6, -0.5, v21
	v_sub_f16_e32 v20, v70, v74
	v_add_f16_e32 v7, v40, v70
	v_fma_f16 v70, v20, s7, v6
	v_fma_f16 v6, v20, s6, v6
	v_add_f16_e32 v20, v59, v65
	v_fma_f16 v20, v20, -0.5, v33
	v_sub_f16_e32 v21, v8, v9
	v_fma_f16 v40, v21, s6, v20
	v_fma_f16 v20, v21, s7, v20
	v_add_f16_e32 v21, v58, v64
	v_fma_f16 v21, v21, -0.5, v37
	v_sub_f16_e32 v44, v10, v11
	;; [unrolled: 5-line block ×5, first 2 shown]
	v_fma_f16 v54, v52, s6, v49
	v_fma_f16 v49, v52, s7, v49
	v_add_f16_e32 v52, v56, v80
	v_add_f16_e32 v7, v7, v74
	v_fma_f16 v52, v52, -0.5, v35
	v_sub_f16_e32 v74, v18, v57
	v_fma_f16 v85, v74, s6, v52
	v_fma_f16 v52, v74, s7, v52
	v_add_f16_e32 v74, v81, v73
	v_fma_f16 v74, v74, -0.5, v34
	v_sub_f16_e32 v86, v60, v68
	v_fma_f16 v87, v86, s6, v74
	v_fma_f16 v74, v86, s7, v74
	v_lshrrev_b32_e32 v86, 3, v0
	v_mul_u32_u24_e32 v86, 24, v86
	v_or_b32_e32 v41, v86, v41
	v_lshl_add_u32 v86, v41, 1, 0
	ds_read_u16 v82, v23 offset:126
	ds_read_u16 v83, v23 offset:252
	s_waitcnt lgkmcnt(0)
	; wave barrier
	s_waitcnt lgkmcnt(0)
	ds_write_b16 v86, v7
	ds_write_b16 v86, v43 offset:16
	ds_write_b16 v86, v19 offset:32
	v_lshrrev_b32_e32 v7, 3, v32
	v_mul_u32_u24_e32 v7, 24, v7
	v_or_b32_e32 v7, v7, v42
	v_add_f16_e32 v19, v33, v59
	v_add_f16_e32 v19, v19, v65
	v_lshl_add_u32 v7, v7, 1, 0
	v_lshrrev_b32_e32 v33, 3, v1
	ds_write_b16 v7, v19
	ds_write_b16 v7, v40 offset:16
	ds_write_b16 v7, v20 offset:32
	v_mul_u32_u24_e32 v19, 24, v33
	v_or_b32_e32 v19, v19, v47
	v_lshl_add_u32 v88, v19, 1, 0
	v_lshrrev_b32_e32 v19, 3, v22
	v_mul_u32_u24_e32 v19, 24, v19
	v_or_b32_e32 v19, v19, v51
	v_lshl_add_u32 v89, v19, 1, 0
	v_lshrrev_b32_e32 v19, 3, v31
	v_add_f16_e32 v20, v37, v58
	v_mul_u32_u24_e32 v19, 24, v19
	v_add_f16_e32 v20, v20, v64
	v_or_b32_e32 v19, v19, v53
	ds_write_b16 v88, v20
	ds_write_b16 v88, v45 offset:16
	ds_write_b16 v88, v21 offset:32
	v_add_f16_e32 v20, v36, v66
	v_lshl_add_u32 v90, v19, 1, 0
	v_lshrrev_b32_e32 v19, 3, v29
	v_add_f16_e32 v20, v20, v67
	v_mul_u32_u24_e32 v19, 24, v19
	ds_write_b16 v89, v20
	ds_write_b16 v89, v48 offset:16
	ds_write_b16 v89, v44 offset:32
	v_add_f16_e32 v20, v39, v71
	v_or_b32_e32 v19, v19, v61
	v_add_f16_e32 v20, v20, v78
	v_lshl_add_u32 v61, v19, 1, 0
	v_lshrrev_b32_e32 v19, 3, v30
	ds_write_b16 v90, v20
	ds_write_b16 v90, v50 offset:16
	ds_write_b16 v90, v46 offset:32
	v_add_f16_e32 v20, v38, v55
	v_mul_u32_u24_e32 v19, 24, v19
	v_add_f16_e32 v20, v20, v79
	v_or_b32_e32 v19, v19, v62
	ds_write_b16 v61, v20
	ds_write_b16 v61, v54 offset:16
	ds_write_b16 v61, v49 offset:32
	v_add_f16_e32 v20, v35, v56
	v_lshl_add_u32 v62, v19, 1, 0
	v_lshrrev_b32_e32 v19, 3, v28
	v_add_f16_e32 v20, v20, v80
	v_mul_u32_u24_e32 v19, 24, v19
	ds_write_b16 v62, v20
	ds_write_b16 v62, v85 offset:16
	ds_write_b16 v62, v52 offset:32
	v_or_b32_e32 v19, v19, v63
	v_add_f16_e32 v20, v34, v81
	v_add_f16_e32 v20, v20, v73
	v_lshl_add_u32 v63, v19, 1, 0
	ds_write_b16 v63, v20
	ds_write_b16 v63, v87 offset:16
	ds_write_b16 v63, v74 offset:32
	s_waitcnt lgkmcnt(0)
	; wave barrier
	s_waitcnt lgkmcnt(0)
	ds_read_u16 v38, v23
	ds_read_u16 v34, v23 offset:126
	ds_read_u16 v21, v23 offset:252
	;; [unrolled: 1-line block ×15, first 2 shown]
	ds_read_u16 v20, v26
	ds_read_u16 v19, v27
	ds_read_u16 v52, v23 offset:2142
	ds_read_u16 v54, v23 offset:2016
	;; [unrolled: 1-line block ×3, first 2 shown]
	ds_read_u16 v36, v25
	ds_read_u16 v37, v24
	ds_read_u16 v41, v23 offset:2898
	s_waitcnt lgkmcnt(0)
	; wave barrier
	s_waitcnt lgkmcnt(0)
	ds_write_b16 v86, v84
	ds_write_b16 v86, v70 offset:16
	ds_write_b16 v86, v6 offset:32
	v_add_f16_e32 v6, v82, v8
	v_add_f16_e32 v8, v8, v9
	;; [unrolled: 1-line block ×3, first 2 shown]
	v_fma_f16 v8, v8, -0.5, v82
	v_sub_f16_e32 v9, v59, v65
	v_fma_f16 v59, v9, s7, v8
	v_fma_f16 v8, v9, s6, v8
	ds_write_b16 v7, v6
	ds_write_b16 v7, v59 offset:16
	ds_write_b16 v7, v8 offset:32
	v_add_f16_e32 v7, v10, v11
	v_add_f16_e32 v6, v83, v10
	v_fma_f16 v7, v7, -0.5, v83
	v_sub_f16_e32 v8, v58, v64
	v_add_f16_e32 v6, v6, v11
	v_fma_f16 v9, v8, s7, v7
	v_fma_f16 v7, v8, s6, v7
	v_add_f16_e32 v10, v14, v15
	ds_write_b16 v88, v6
	ds_write_b16 v88, v9 offset:16
	ds_write_b16 v88, v7 offset:32
	v_add_f16_e32 v6, v69, v12
	v_add_f16_e32 v7, v12, v13
	v_fma_f16 v10, v10, -0.5, v77
	v_sub_f16_e32 v11, v71, v78
	v_add_f16_e32 v6, v6, v13
	v_fma_f16 v7, v7, -0.5, v69
	v_sub_f16_e32 v8, v66, v67
	v_fma_f16 v12, v11, s7, v10
	v_fma_f16 v10, v11, s6, v10
	v_add_f16_e32 v11, v76, v16
	v_add_f16_e32 v13, v16, v17
	;; [unrolled: 1-line block ×3, first 2 shown]
	v_fma_f16 v9, v8, s7, v7
	v_fma_f16 v7, v8, s6, v7
	v_add_f16_e32 v8, v77, v14
	v_add_f16_e32 v11, v11, v17
	v_fma_f16 v13, v13, -0.5, v76
	v_sub_f16_e32 v14, v55, v79
	v_fma_f16 v16, v16, -0.5, v72
	v_sub_f16_e32 v17, v56, v80
	v_add_f16_e32 v55, v60, v68
	v_add_f16_e32 v8, v8, v15
	v_fma_f16 v15, v14, s7, v13
	v_fma_f16 v13, v14, s6, v13
	v_add_f16_e32 v14, v72, v18
	v_fma_f16 v18, v17, s7, v16
	v_fma_f16 v16, v17, s6, v16
	v_add_f16_e32 v17, v75, v60
	v_fma_f16 v55, v55, -0.5, v75
	v_sub_f16_e32 v56, v81, v73
	v_add_f16_e32 v14, v14, v57
	v_add_f16_e32 v17, v17, v68
	v_fma_f16 v57, v56, s7, v55
	v_fma_f16 v55, v56, s6, v55
	ds_write_b16 v89, v6
	ds_write_b16 v89, v9 offset:16
	ds_write_b16 v89, v7 offset:32
	ds_write_b16 v90, v8
	ds_write_b16 v90, v12 offset:16
	ds_write_b16 v90, v10 offset:32
	;; [unrolled: 3-line block ×5, first 2 shown]
	v_mul_lo_u16_sdwa v6, v0, s0 dst_sel:DWORD dst_unused:UNUSED_PAD src0_sel:BYTE_0 src1_sel:DWORD
	v_lshrrev_b16_e32 v55, 12, v6
	v_mul_lo_u16_e32 v6, 24, v55
	v_sub_u16_e32 v56, v0, v6
	v_mov_b32_e32 v18, 3
	v_lshlrev_b32_sdwa v6, v18, v56 dst_sel:DWORD dst_unused:UNUSED_PAD src0_sel:DWORD src1_sel:BYTE_0
	v_mul_lo_u16_sdwa v8, v32, s0 dst_sel:DWORD dst_unused:UNUSED_PAD src0_sel:BYTE_0 src1_sel:DWORD
	s_waitcnt lgkmcnt(0)
	; wave barrier
	s_waitcnt lgkmcnt(0)
	global_load_dwordx2 v[6:7], v6, s[4:5] offset:88
	v_lshrrev_b16_e32 v57, 12, v8
	v_mul_lo_u16_e32 v8, 24, v57
	v_sub_u16_e32 v58, v32, v8
	v_lshlrev_b32_sdwa v8, v18, v58 dst_sel:DWORD dst_unused:UNUSED_PAD src0_sel:DWORD src1_sel:BYTE_0
	global_load_dwordx2 v[8:9], v8, s[4:5] offset:88
	v_mul_lo_u16_sdwa v10, v1, s0 dst_sel:DWORD dst_unused:UNUSED_PAD src0_sel:BYTE_0 src1_sel:DWORD
	v_lshrrev_b16_e32 v59, 12, v10
	v_mul_lo_u16_e32 v10, 24, v59
	v_sub_u16_e32 v60, v1, v10
	v_lshlrev_b32_sdwa v10, v18, v60 dst_sel:DWORD dst_unused:UNUSED_PAD src0_sel:DWORD src1_sel:BYTE_0
	global_load_dwordx2 v[10:11], v10, s[4:5] offset:88
	v_mul_lo_u16_sdwa v12, v22, s0 dst_sel:DWORD dst_unused:UNUSED_PAD src0_sel:BYTE_0 src1_sel:DWORD
	v_lshrrev_b16_e32 v61, 12, v12
	v_mul_lo_u16_e32 v12, 24, v61
	s_mov_b32 s0, 0xaaab
	v_sub_u16_e32 v62, v22, v12
	v_mul_u32_u24_sdwa v14, v31, s0 dst_sel:DWORD dst_unused:UNUSED_PAD src0_sel:WORD_0 src1_sel:DWORD
	v_mul_u32_u24_sdwa v64, v30, s0 dst_sel:DWORD dst_unused:UNUSED_PAD src0_sel:WORD_0 src1_sel:DWORD
	v_lshlrev_b32_sdwa v12, v18, v62 dst_sel:DWORD dst_unused:UNUSED_PAD src0_sel:DWORD src1_sel:BYTE_0
	global_load_dwordx2 v[12:13], v12, s[4:5] offset:88
	v_lshrrev_b32_e32 v63, 20, v14
	v_lshrrev_b32_e32 v71, 20, v64
	v_mul_lo_u16_e32 v14, 24, v63
	v_mul_lo_u16_e32 v64, 24, v71
	v_sub_u16_e32 v68, v31, v14
	v_sub_u16_e32 v72, v30, v64
	v_lshlrev_b32_e32 v14, 3, v68
	v_lshlrev_b32_e32 v64, 3, v72
	global_load_dwordx2 v[16:17], v14, s[4:5] offset:88
	v_mul_u32_u24_sdwa v66, v28, s0 dst_sel:DWORD dst_unused:UNUSED_PAD src0_sel:WORD_0 src1_sel:DWORD
	global_load_dwordx2 v[64:65], v64, s[4:5] offset:88
	v_mul_u32_u24_sdwa v14, v29, s0 dst_sel:DWORD dst_unused:UNUSED_PAD src0_sel:WORD_0 src1_sel:DWORD
	v_lshrrev_b32_e32 v69, 20, v14
	v_mul_lo_u16_e32 v14, 24, v69
	v_sub_u16_e32 v70, v29, v14
	v_lshlrev_b32_e32 v14, 3, v70
	global_load_dwordx2 v[14:15], v14, s[4:5] offset:88
	v_lshrrev_b32_e32 v73, 20, v66
	v_mul_lo_u16_e32 v66, 24, v73
	v_sub_u16_e32 v74, v28, v66
	v_lshlrev_b32_e32 v66, 3, v74
	global_load_dwordx2 v[66:67], v66, s[4:5] offset:88
	ds_read_u16 v75, v23 offset:1008
	ds_read_u16 v76, v23 offset:1134
	;; [unrolled: 1-line block ×5, first 2 shown]
	s_mov_b32 s0, 0x5040100
	s_waitcnt vmcnt(7) lgkmcnt(4)
	v_mul_f16_sdwa v80, v75, v6 dst_sel:DWORD dst_unused:UNUSED_PAD src0_sel:DWORD src1_sel:WORD_1
	v_fma_f16 v80, v53, v6, -v80
	v_mul_f16_sdwa v53, v53, v6 dst_sel:DWORD dst_unused:UNUSED_PAD src0_sel:DWORD src1_sel:WORD_1
	v_fma_f16 v6, v75, v6, v53
	ds_read_u16 v53, v23 offset:2016
	ds_read_u16 v75, v23 offset:2142
	;; [unrolled: 1-line block ×8, first 2 shown]
	s_waitcnt lgkmcnt(7)
	v_mul_f16_sdwa v87, v53, v7 dst_sel:DWORD dst_unused:UNUSED_PAD src0_sel:DWORD src1_sel:WORD_1
	v_fma_f16 v87, v54, v7, -v87
	v_mul_f16_sdwa v54, v54, v7 dst_sel:DWORD dst_unused:UNUSED_PAD src0_sel:DWORD src1_sel:WORD_1
	v_fma_f16 v7, v53, v7, v54
	s_waitcnt vmcnt(6)
	v_mul_f16_sdwa v53, v76, v8 dst_sel:DWORD dst_unused:UNUSED_PAD src0_sel:DWORD src1_sel:WORD_1
	v_fma_f16 v88, v51, v8, -v53
	v_mul_f16_sdwa v51, v51, v8 dst_sel:DWORD dst_unused:UNUSED_PAD src0_sel:DWORD src1_sel:WORD_1
	v_fma_f16 v8, v76, v8, v51
	s_waitcnt lgkmcnt(6)
	v_mul_f16_sdwa v51, v75, v9 dst_sel:DWORD dst_unused:UNUSED_PAD src0_sel:DWORD src1_sel:WORD_1
	v_fma_f16 v76, v52, v9, -v51
	v_mul_f16_sdwa v51, v52, v9 dst_sel:DWORD dst_unused:UNUSED_PAD src0_sel:DWORD src1_sel:WORD_1
	v_fma_f16 v9, v75, v9, v51
	s_waitcnt vmcnt(5)
	v_mul_f16_sdwa v51, v77, v10 dst_sel:DWORD dst_unused:UNUSED_PAD src0_sel:DWORD src1_sel:WORD_1
	v_fma_f16 v75, v49, v10, -v51
	v_mul_f16_sdwa v49, v49, v10 dst_sel:DWORD dst_unused:UNUSED_PAD src0_sel:DWORD src1_sel:WORD_1
	v_fma_f16 v10, v77, v10, v49
	;; [unrolled: 10-line block ×3, first 2 shown]
	s_waitcnt lgkmcnt(4)
	v_mul_f16_sdwa v46, v82, v13 dst_sel:DWORD dst_unused:UNUSED_PAD src0_sel:DWORD src1_sel:WORD_1
	v_fma_f16 v78, v48, v13, -v46
	v_mul_f16_sdwa v46, v48, v13 dst_sel:DWORD dst_unused:UNUSED_PAD src0_sel:DWORD src1_sel:WORD_1
	v_fma_f16 v13, v82, v13, v46
	s_waitcnt vmcnt(3) lgkmcnt(3)
	v_mul_f16_sdwa v46, v83, v16 dst_sel:DWORD dst_unused:UNUSED_PAD src0_sel:DWORD src1_sel:WORD_1
	v_fma_f16 v82, v47, v16, -v46
	v_mul_f16_sdwa v46, v47, v16 dst_sel:DWORD dst_unused:UNUSED_PAD src0_sel:DWORD src1_sel:WORD_1
	v_fma_f16 v16, v83, v16, v46
	ds_read_u16 v46, v23 offset:2520
	ds_read_u16 v47, v23 offset:2646
	;; [unrolled: 1-line block ×4, first 2 shown]
	ds_read_u16 v83, v26
	ds_read_u16 v89, v27
	;; [unrolled: 1-line block ×4, first 2 shown]
	s_waitcnt lgkmcnt(7)
	v_mul_f16_sdwa v50, v46, v17 dst_sel:DWORD dst_unused:UNUSED_PAD src0_sel:DWORD src1_sel:WORD_1
	v_fma_f16 v92, v45, v17, -v50
	v_mul_f16_sdwa v45, v45, v17 dst_sel:DWORD dst_unused:UNUSED_PAD src0_sel:DWORD src1_sel:WORD_1
	v_fma_f16 v17, v46, v17, v45
	s_waitcnt vmcnt(1)
	v_mul_f16_sdwa v45, v84, v14 dst_sel:DWORD dst_unused:UNUSED_PAD src0_sel:DWORD src1_sel:WORD_1
	v_fma_f16 v93, v43, v14, -v45
	v_mul_f16_sdwa v43, v43, v14 dst_sel:DWORD dst_unused:UNUSED_PAD src0_sel:DWORD src1_sel:WORD_1
	v_fma_f16 v14, v84, v14, v43
	s_waitcnt lgkmcnt(6)
	v_mul_f16_sdwa v43, v47, v15 dst_sel:DWORD dst_unused:UNUSED_PAD src0_sel:DWORD src1_sel:WORD_1
	v_fma_f16 v84, v44, v15, -v43
	v_mul_f16_sdwa v43, v44, v15 dst_sel:DWORD dst_unused:UNUSED_PAD src0_sel:DWORD src1_sel:WORD_1
	v_fma_f16 v15, v47, v15, v43
	v_mul_f16_sdwa v43, v85, v64 dst_sel:DWORD dst_unused:UNUSED_PAD src0_sel:DWORD src1_sel:WORD_1
	v_fma_f16 v94, v40, v64, -v43
	v_mul_f16_sdwa v40, v40, v64 dst_sel:DWORD dst_unused:UNUSED_PAD src0_sel:DWORD src1_sel:WORD_1
	v_fma_f16 v64, v85, v64, v40
	s_waitcnt lgkmcnt(5)
	v_mul_f16_sdwa v40, v48, v65 dst_sel:DWORD dst_unused:UNUSED_PAD src0_sel:DWORD src1_sel:WORD_1
	v_fma_f16 v85, v39, v65, -v40
	v_mul_f16_sdwa v39, v39, v65 dst_sel:DWORD dst_unused:UNUSED_PAD src0_sel:DWORD src1_sel:WORD_1
	v_fma_f16 v65, v48, v65, v39
	s_waitcnt vmcnt(0)
	v_mul_f16_sdwa v39, v86, v66 dst_sel:DWORD dst_unused:UNUSED_PAD src0_sel:DWORD src1_sel:WORD_1
	v_fma_f16 v95, v42, v66, -v39
	v_mul_f16_sdwa v39, v42, v66 dst_sel:DWORD dst_unused:UNUSED_PAD src0_sel:DWORD src1_sel:WORD_1
	v_fma_f16 v66, v86, v66, v39
	s_waitcnt lgkmcnt(4)
	v_mul_f16_sdwa v39, v49, v67 dst_sel:DWORD dst_unused:UNUSED_PAD src0_sel:DWORD src1_sel:WORD_1
	v_fma_f16 v86, v41, v67, -v39
	v_mul_f16_sdwa v39, v41, v67 dst_sel:DWORD dst_unused:UNUSED_PAD src0_sel:DWORD src1_sel:WORD_1
	ds_read_u16 v41, v23
	v_fma_f16 v67, v49, v67, v39
	v_add_f16_e32 v39, v80, v87
	v_fma_f16 v39, v39, -0.5, v38
	v_sub_f16_e32 v40, v6, v7
	v_fma_f16 v42, v40, s6, v39
	v_fma_f16 v39, v40, s7, v39
	s_waitcnt lgkmcnt(0)
	v_add_f16_e32 v40, v41, v6
	v_add_f16_e32 v6, v6, v7
	;; [unrolled: 1-line block ×3, first 2 shown]
	v_fma_f16 v6, v6, -0.5, v41
	v_add_f16_e32 v7, v38, v80
	v_sub_f16_e32 v38, v80, v87
	v_fma_f16 v80, v38, s7, v6
	v_fma_f16 v6, v38, s6, v6
	v_add_f16_e32 v38, v88, v76
	v_fma_f16 v38, v38, -0.5, v34
	v_sub_f16_e32 v40, v8, v9
	v_fma_f16 v41, v40, s6, v38
	v_fma_f16 v40, v40, s7, v38
	v_add_f16_e32 v38, v75, v77
	v_fma_f16 v38, v38, -0.5, v21
	;; [unrolled: 5-line block ×3, first 2 shown]
	v_sub_f16_e32 v45, v12, v13
	v_fma_f16 v46, v45, s6, v38
	v_fma_f16 v45, v45, s7, v38
	v_mov_b32_e32 v38, 1
	v_lshlrev_b32_sdwa v47, v38, v56 dst_sel:DWORD dst_unused:UNUSED_PAD src0_sel:DWORD src1_sel:BYTE_0
	v_mul_u32_u24_e32 v48, 0x90, v55
	v_add3_u32 v56, 0, v48, v47
	v_lshlrev_b32_sdwa v47, v38, v58 dst_sel:DWORD dst_unused:UNUSED_PAD src0_sel:DWORD src1_sel:BYTE_0
	v_mul_u32_u24_e32 v48, 0x90, v57
	v_add3_u32 v57, 0, v48, v47
	v_lshlrev_b32_sdwa v47, v38, v60 dst_sel:DWORD dst_unused:UNUSED_PAD src0_sel:DWORD src1_sel:BYTE_0
	v_mul_u32_u24_e32 v48, 0x90, v59
	v_add_f16_e32 v7, v7, v87
	v_add3_u32 v58, 0, v48, v47
	v_lshlrev_b32_sdwa v47, v38, v62 dst_sel:DWORD dst_unused:UNUSED_PAD src0_sel:DWORD src1_sel:BYTE_0
	v_mul_u32_u24_e32 v48, 0x90, v61
	ds_read_u16 v96, v23 offset:126
	ds_read_u16 v97, v23 offset:252
	v_add3_u32 v59, 0, v48, v47
	v_add_f16_e32 v47, v82, v92
	s_waitcnt lgkmcnt(0)
	; wave barrier
	s_waitcnt lgkmcnt(0)
	ds_write_b16 v56, v7
	ds_write_b16 v56, v42 offset:48
	ds_write_b16 v56, v39 offset:96
	v_add_f16_e32 v7, v34, v88
	v_fma_f16 v47, v47, -0.5, v37
	v_sub_f16_e32 v48, v16, v17
	v_add_f16_e32 v7, v7, v76
	v_fma_f16 v49, v48, s6, v47
	v_fma_f16 v47, v48, s7, v47
	v_add_f16_e32 v48, v93, v84
	ds_write_b16 v57, v7
	ds_write_b16 v57, v41 offset:48
	ds_write_b16 v57, v40 offset:96
	v_add_f16_e32 v7, v21, v75
	v_fma_f16 v48, v48, -0.5, v36
	v_sub_f16_e32 v50, v14, v15
	v_add_f16_e32 v7, v7, v77
	v_fma_f16 v51, v50, s6, v48
	v_fma_f16 v48, v50, s7, v48
	v_perm_b32 v50, v69, v63, s0
	ds_write_b16 v58, v7
	ds_write_b16 v58, v44 offset:48
	ds_write_b16 v58, v43 offset:96
	v_add_f16_e32 v7, v35, v81
	v_pk_mul_lo_u16 v50, v50, s1 op_sel_hi:[1,0]
	v_add_f16_e32 v7, v7, v78
	v_lshlrev_b32_e32 v52, 1, v68
	v_and_b32_e32 v53, 0xfff0, v50
	ds_write_b16 v59, v7
	ds_write_b16 v59, v46 offset:48
	ds_write_b16 v59, v45 offset:96
	v_add_f16_e32 v7, v37, v82
	v_add3_u32 v60, 0, v53, v52
	v_add_f16_e32 v7, v7, v92
	v_lshlrev_b32_e32 v52, 1, v70
	v_lshrrev_b32_e32 v50, 16, v50
	ds_write_b16 v60, v7
	ds_write_b16 v60, v49 offset:48
	ds_write_b16 v60, v47 offset:96
	v_add_f16_e32 v7, v36, v93
	v_add3_u32 v61, 0, v50, v52
	v_add_f16_e32 v7, v7, v84
	ds_write_b16 v61, v7
	ds_write_b16 v61, v51 offset:48
	ds_write_b16 v61, v48 offset:96
	v_perm_b32 v7, v73, v71, s0
	v_add_f16_e32 v50, v94, v85
	v_pk_mul_lo_u16 v7, v7, s1 op_sel_hi:[1,0]
	v_fma_f16 v50, v50, -0.5, v20
	v_sub_f16_e32 v52, v64, v65
	v_lshlrev_b32_e32 v21, 1, v72
	v_and_b32_e32 v34, 0xfff0, v7
	v_add_f16_e32 v20, v20, v94
	v_fma_f16 v53, v52, s6, v50
	v_fma_f16 v50, v52, s7, v50
	v_add_f16_e32 v52, v95, v86
	v_add3_u32 v21, 0, v34, v21
	v_add_f16_e32 v20, v20, v85
	v_fma_f16 v52, v52, -0.5, v19
	v_sub_f16_e32 v54, v66, v67
	ds_write_b16 v21, v20
	ds_write_b16 v21, v53 offset:48
	ds_write_b16 v21, v50 offset:96
	v_lshlrev_b32_e32 v20, 1, v74
	v_lshrrev_b32_e32 v7, 16, v7
	v_add_f16_e32 v19, v19, v95
	v_fma_f16 v55, v54, s6, v52
	v_fma_f16 v52, v54, s7, v52
	v_add3_u32 v7, 0, v7, v20
	v_add_f16_e32 v19, v19, v86
	ds_write_b16 v7, v19
	ds_write_b16 v7, v55 offset:48
	ds_write_b16 v7, v52 offset:96
	s_waitcnt lgkmcnt(0)
	; wave barrier
	s_waitcnt lgkmcnt(0)
	ds_read_u16 v41, v23
	ds_read_u16 v39, v23 offset:126
	ds_read_u16 v36, v23 offset:252
	;; [unrolled: 1-line block ×15, first 2 shown]
	ds_read_u16 v35, v26
	ds_read_u16 v34, v27
	ds_read_u16 v68, v23 offset:2142
	ds_read_u16 v63, v23 offset:2016
	;; [unrolled: 1-line block ×3, first 2 shown]
	ds_read_u16 v40, v25
	ds_read_u16 v42, v24
	ds_read_u16 v45, v23 offset:2898
	s_waitcnt lgkmcnt(0)
	; wave barrier
	s_waitcnt lgkmcnt(0)
	ds_write_b16 v56, v98
	ds_write_b16 v56, v80 offset:48
	ds_write_b16 v56, v6 offset:96
	v_add_f16_e32 v6, v96, v8
	v_add_f16_e32 v8, v8, v9
	;; [unrolled: 1-line block ×3, first 2 shown]
	v_fma_f16 v8, v8, -0.5, v96
	v_sub_f16_e32 v9, v88, v76
	v_fma_f16 v19, v9, s7, v8
	v_fma_f16 v8, v9, s6, v8
	ds_write_b16 v57, v6
	ds_write_b16 v57, v19 offset:48
	ds_write_b16 v57, v8 offset:96
	v_add_f16_e32 v8, v10, v11
	v_add_f16_e32 v6, v97, v10
	v_fma_f16 v8, v8, -0.5, v97
	v_sub_f16_e32 v9, v75, v77
	v_add_f16_e32 v6, v6, v11
	v_fma_f16 v10, v9, s7, v8
	v_fma_f16 v8, v9, s6, v8
	ds_write_b16 v58, v6
	ds_write_b16 v58, v10 offset:48
	ds_write_b16 v58, v8 offset:96
	v_add_f16_e32 v8, v12, v13
	v_add_f16_e32 v6, v79, v12
	v_fma_f16 v8, v8, -0.5, v79
	v_sub_f16_e32 v9, v81, v78
	v_add_f16_e32 v6, v6, v13
	v_fma_f16 v10, v9, s7, v8
	v_fma_f16 v8, v9, s6, v8
	ds_write_b16 v59, v6
	ds_write_b16 v59, v10 offset:48
	ds_write_b16 v59, v8 offset:96
	v_add_f16_e32 v8, v16, v17
	v_fma_f16 v8, v8, -0.5, v91
	v_sub_f16_e32 v9, v82, v92
	v_add_f16_e32 v6, v91, v16
	v_fma_f16 v10, v9, s7, v8
	v_fma_f16 v8, v9, s6, v8
	v_add_f16_e32 v9, v90, v14
	v_add_f16_e32 v11, v14, v15
	;; [unrolled: 1-line block ×5, first 2 shown]
	v_fma_f16 v11, v11, -0.5, v90
	v_sub_f16_e32 v12, v93, v84
	v_fma_f16 v14, v14, -0.5, v83
	v_sub_f16_e32 v15, v94, v85
	v_add_f16_e32 v17, v66, v67
	v_fma_f16 v13, v12, s7, v11
	v_fma_f16 v11, v12, s6, v11
	v_add_f16_e32 v12, v83, v64
	v_fma_f16 v16, v15, s7, v14
	v_fma_f16 v14, v15, s6, v14
	v_add_f16_e32 v15, v89, v66
	v_fma_f16 v17, v17, -0.5, v89
	v_sub_f16_e32 v19, v95, v86
	v_add_f16_e32 v12, v12, v65
	v_add_f16_e32 v15, v15, v67
	v_fma_f16 v20, v19, s7, v17
	v_fma_f16 v17, v19, s6, v17
	ds_write_b16 v60, v6
	ds_write_b16 v60, v10 offset:48
	ds_write_b16 v60, v8 offset:96
	ds_write_b16 v61, v9
	ds_write_b16 v61, v13 offset:48
	ds_write_b16 v61, v11 offset:96
	;; [unrolled: 3-line block ×4, first 2 shown]
	v_lshl_add_u64 v[6:7], v[4:5], 2, s[4:5]
	v_add_u32_e32 v4, -9, v0
	v_cmp_gt_u32_e64 s[0:1], 9, v0
	s_waitcnt lgkmcnt(0)
	; wave barrier
	s_waitcnt lgkmcnt(0)
	global_load_dwordx2 v[6:7], v[6:7], off offset:280
	v_cndmask_b32_e64 v4, v4, v32, s[0:1]
	v_lshlrev_b32_e32 v4, 1, v4
	v_lshl_add_u64 v[8:9], v[4:5], 2, s[4:5]
	v_mov_b32_e32 v5, 57
	v_mul_lo_u16_sdwa v10, v1, v5 dst_sel:DWORD dst_unused:UNUSED_PAD src0_sel:BYTE_0 src1_sel:DWORD
	global_load_dwordx2 v[8:9], v[8:9], off offset:280
	v_lshrrev_b16_e32 v32, 12, v10
	v_mul_lo_u16_e32 v10, 0x48, v32
	v_sub_u16_e32 v81, v1, v10
	v_lshlrev_b32_sdwa v10, v18, v81 dst_sel:DWORD dst_unused:UNUSED_PAD src0_sel:DWORD src1_sel:BYTE_0
	v_mul_lo_u16_sdwa v5, v22, v5 dst_sel:DWORD dst_unused:UNUSED_PAD src0_sel:BYTE_0 src1_sel:DWORD
	global_load_dwordx2 v[10:11], v10, s[4:5] offset:280
	v_lshrrev_b16_e32 v82, 12, v5
	v_mul_lo_u16_e32 v5, 0x48, v82
	v_sub_u16_e32 v83, v22, v5
	v_lshlrev_b32_sdwa v5, v18, v83 dst_sel:DWORD dst_unused:UNUSED_PAD src0_sel:DWORD src1_sel:BYTE_0
	global_load_dwordx2 v[12:13], v5, s[4:5] offset:280
	s_mov_b32 s0, 0xe38f
	v_mul_u32_u24_sdwa v5, v31, s0 dst_sel:DWORD dst_unused:UNUSED_PAD src0_sel:WORD_0 src1_sel:DWORD
	v_lshrrev_b32_e32 v84, 22, v5
	v_mul_lo_u16_e32 v5, 0x48, v84
	v_sub_u16_e32 v31, v31, v5
	v_lshlrev_b32_e32 v5, 3, v31
	global_load_dwordx2 v[20:21], v5, s[4:5] offset:280
	v_mul_u32_u24_sdwa v5, v29, s0 dst_sel:DWORD dst_unused:UNUSED_PAD src0_sel:WORD_0 src1_sel:DWORD
	v_lshrrev_b32_e32 v85, 22, v5
	v_mul_lo_u16_e32 v5, 0x48, v85
	v_sub_u16_e32 v29, v29, v5
	v_lshlrev_b32_e32 v5, 3, v29
	global_load_dwordx2 v[18:19], v5, s[4:5] offset:280
	v_mul_u32_u24_sdwa v5, v30, s0 dst_sel:DWORD dst_unused:UNUSED_PAD src0_sel:WORD_0 src1_sel:DWORD
	v_lshrrev_b32_e32 v86, 22, v5
	v_mul_lo_u16_e32 v5, 0x48, v86
	v_sub_u16_e32 v30, v30, v5
	v_lshlrev_b32_e32 v5, 3, v30
	global_load_dwordx2 v[16:17], v5, s[4:5] offset:280
	v_mul_u32_u24_sdwa v5, v28, s0 dst_sel:DWORD dst_unused:UNUSED_PAD src0_sel:WORD_0 src1_sel:DWORD
	v_lshrrev_b32_e32 v5, 22, v5
	v_mul_lo_u16_e32 v5, 0x48, v5
	v_sub_u16_e32 v28, v28, v5
	v_lshlrev_b32_e32 v5, 3, v28
	global_load_dwordx2 v[14:15], v5, s[4:5] offset:280
	ds_read_u16 v57, v23 offset:1008
	ds_read_u16 v59, v23 offset:1134
	;; [unrolled: 1-line block ×5, first 2 shown]
	v_cmp_lt_u32_e64 s[0:1], 8, v0
	s_waitcnt vmcnt(7) lgkmcnt(4)
	v_mul_f16_sdwa v56, v57, v6 dst_sel:DWORD dst_unused:UNUSED_PAD src0_sel:DWORD src1_sel:WORD_1
	v_mul_f16_sdwa v58, v62, v6 dst_sel:DWORD dst_unused:UNUSED_PAD src0_sel:DWORD src1_sel:WORD_1
	v_fma_f16 v56, v62, v6, -v56
	v_fma_f16 v57, v57, v6, v58
	ds_read_u16 v6, v23 offset:2016
	ds_read_u16 v64, v23 offset:2142
	;; [unrolled: 1-line block ×5, first 2 shown]
	s_waitcnt lgkmcnt(4)
	v_mul_f16_sdwa v58, v6, v7 dst_sel:DWORD dst_unused:UNUSED_PAD src0_sel:DWORD src1_sel:WORD_1
	v_fma_f16 v61, v63, v7, -v58
	v_mul_f16_sdwa v58, v63, v7 dst_sel:DWORD dst_unused:UNUSED_PAD src0_sel:DWORD src1_sel:WORD_1
	v_fma_f16 v69, v6, v7, v58
	s_waitcnt vmcnt(6)
	v_mul_f16_sdwa v6, v59, v8 dst_sel:DWORD dst_unused:UNUSED_PAD src0_sel:DWORD src1_sel:WORD_1
	v_fma_f16 v58, v55, v8, -v6
	v_mul_f16_sdwa v6, v55, v8 dst_sel:DWORD dst_unused:UNUSED_PAD src0_sel:DWORD src1_sel:WORD_1
	v_fma_f16 v62, v59, v8, v6
	s_waitcnt lgkmcnt(3)
	v_mul_f16_sdwa v6, v64, v9 dst_sel:DWORD dst_unused:UNUSED_PAD src0_sel:DWORD src1_sel:WORD_1
	v_fma_f16 v63, v68, v9, -v6
	v_mul_f16_sdwa v6, v68, v9 dst_sel:DWORD dst_unused:UNUSED_PAD src0_sel:DWORD src1_sel:WORD_1
	v_fma_f16 v70, v64, v9, v6
	s_waitcnt vmcnt(5)
	v_mul_f16_sdwa v6, v60, v10 dst_sel:DWORD dst_unused:UNUSED_PAD src0_sel:DWORD src1_sel:WORD_1
	v_fma_f16 v59, v53, v10, -v6
	v_mul_f16_sdwa v6, v53, v10 dst_sel:DWORD dst_unused:UNUSED_PAD src0_sel:DWORD src1_sel:WORD_1
	v_fma_f16 v64, v60, v10, v6
	;; [unrolled: 10-line block ×3, first 2 shown]
	s_waitcnt lgkmcnt(1)
	v_mul_f16_sdwa v6, v71, v13 dst_sel:DWORD dst_unused:UNUSED_PAD src0_sel:DWORD src1_sel:WORD_1
	v_fma_f16 v67, v52, v13, -v6
	ds_read_u16 v6, v23 offset:1512
	v_mul_f16_sdwa v7, v52, v13 dst_sel:DWORD dst_unused:UNUSED_PAD src0_sel:DWORD src1_sel:WORD_1
	v_fma_f16 v74, v71, v13, v7
	ds_read_u16 v7, v23 offset:1638
	ds_read_u16 v8, v23 offset:1764
	s_waitcnt vmcnt(3) lgkmcnt(2)
	v_mul_f16_sdwa v9, v6, v20 dst_sel:DWORD dst_unused:UNUSED_PAD src0_sel:DWORD src1_sel:WORD_1
	v_fma_f16 v68, v50, v20, -v9
	v_mul_f16_sdwa v9, v50, v20 dst_sel:DWORD dst_unused:UNUSED_PAD src0_sel:DWORD src1_sel:WORD_1
	v_fma_f16 v73, v6, v20, v9
	ds_read_u16 v6, v23 offset:2520
	ds_read_u16 v9, v23 offset:2646
	ds_read_u16 v10, v23 offset:2772
	ds_read_u16 v11, v23 offset:2898
	ds_read_u16 v13, v26
	ds_read_u16 v20, v27
	;; [unrolled: 1-line block ×4, first 2 shown]
	s_waitcnt lgkmcnt(7)
	v_mul_f16_sdwa v12, v6, v21 dst_sel:DWORD dst_unused:UNUSED_PAD src0_sel:DWORD src1_sel:WORD_1
	v_fma_f16 v76, v49, v21, -v12
	v_mul_f16_sdwa v12, v49, v21 dst_sel:DWORD dst_unused:UNUSED_PAD src0_sel:DWORD src1_sel:WORD_1
	v_fma_f16 v78, v6, v21, v12
	s_waitcnt vmcnt(2)
	v_mul_f16_sdwa v6, v7, v18 dst_sel:DWORD dst_unused:UNUSED_PAD src0_sel:DWORD src1_sel:WORD_1
	v_fma_f16 v21, v47, v18, -v6
	v_mul_f16_sdwa v6, v47, v18 dst_sel:DWORD dst_unused:UNUSED_PAD src0_sel:DWORD src1_sel:WORD_1
	v_fma_f16 v47, v7, v18, v6
	s_waitcnt lgkmcnt(6)
	v_mul_f16_sdwa v6, v9, v19 dst_sel:DWORD dst_unused:UNUSED_PAD src0_sel:DWORD src1_sel:WORD_1
	v_fma_f16 v77, v48, v19, -v6
	v_mul_f16_sdwa v6, v48, v19 dst_sel:DWORD dst_unused:UNUSED_PAD src0_sel:DWORD src1_sel:WORD_1
	v_fma_f16 v79, v9, v19, v6
	s_waitcnt vmcnt(1)
	v_mul_f16_sdwa v6, v8, v16 dst_sel:DWORD dst_unused:UNUSED_PAD src0_sel:DWORD src1_sel:WORD_1
	v_fma_f16 v18, v44, v16, -v6
	v_mul_f16_sdwa v6, v44, v16 dst_sel:DWORD dst_unused:UNUSED_PAD src0_sel:DWORD src1_sel:WORD_1
	v_fma_f16 v44, v8, v16, v6
	;; [unrolled: 10-line block ×3, first 2 shown]
	s_waitcnt lgkmcnt(4)
	v_mul_f16_sdwa v6, v11, v15 dst_sel:DWORD dst_unused:UNUSED_PAD src0_sel:DWORD src1_sel:WORD_1
	v_add_f16_e32 v7, v56, v61
	v_fma_f16 v46, v45, v15, -v6
	v_mul_f16_sdwa v6, v45, v15 dst_sel:DWORD dst_unused:UNUSED_PAD src0_sel:DWORD src1_sel:WORD_1
	v_fma_f16 v7, v7, -0.5, v41
	v_sub_f16_e32 v8, v57, v69
	v_fma_f16 v15, v11, v15, v6
	v_fma_f16 v10, v8, s6, v7
	;; [unrolled: 1-line block ×3, first 2 shown]
	v_add_f16_e32 v7, v58, v63
	v_fma_f16 v7, v7, -0.5, v39
	v_sub_f16_e32 v8, v62, v70
	v_fma_f16 v12, v8, s6, v7
	v_fma_f16 v16, v8, s7, v7
	v_add_f16_e32 v7, v59, v65
	v_fma_f16 v7, v7, -0.5, v36
	v_sub_f16_e32 v8, v64, v72
	v_fma_f16 v19, v8, s6, v7
	v_fma_f16 v24, v8, s7, v7
	;; [unrolled: 5-line block ×5, first 2 shown]
	v_add_f16_e32 v7, v18, v48
	v_mov_b32_e32 v6, 0x1b0
	v_fma_f16 v7, v7, -0.5, v35
	v_sub_f16_e32 v8, v44, v80
	v_cndmask_b32_e64 v6, 0, v6, s[0:1]
	v_fma_f16 v51, v8, s6, v7
	v_fma_f16 v52, v8, s7, v7
	v_add_f16_e32 v7, v17, v46
	v_add3_u32 v4, 0, v6, v4
	v_lshlrev_b32_sdwa v6, v38, v81 dst_sel:DWORD dst_unused:UNUSED_PAD src0_sel:DWORD src1_sel:BYTE_0
	v_lshlrev_b32_sdwa v9, v38, v83 dst_sel:DWORD dst_unused:UNUSED_PAD src0_sel:DWORD src1_sel:BYTE_0
	v_fma_f16 v8, v7, -0.5, v34
	v_sub_f16_e32 v38, v14, v15
	v_fma_f16 v7, v38, s6, v8
	v_fma_f16 v8, v38, s7, v8
	v_add_f16_e32 v38, v41, v56
	v_add_f16_e32 v38, v38, v61
	ds_read_u16 v81, v23
	ds_read_u16 v45, v23 offset:126
	ds_read_u16 v41, v23 offset:252
	s_waitcnt lgkmcnt(0)
	; wave barrier
	s_waitcnt lgkmcnt(0)
	ds_write_b16 v23, v38
	ds_write_b16 v23, v10 offset:144
	ds_write_b16 v23, v11 offset:288
	v_add_f16_e32 v10, v39, v58
	v_add_f16_e32 v10, v10, v63
	ds_write_b16 v4, v10
	ds_write_b16 v4, v12 offset:144
	ds_write_b16 v4, v16 offset:288
	v_mul_u32_u24_e32 v10, 0x1b0, v32
	v_add3_u32 v38, 0, v10, v6
	v_add_f16_e32 v6, v36, v59
	v_add_f16_e32 v6, v6, v65
	ds_write_b16 v38, v6
	ds_write_b16 v38, v19 offset:144
	ds_write_b16 v38, v24 offset:288
	v_mul_u32_u24_e32 v6, 0x1b0, v82
	v_add3_u32 v36, 0, v6, v9
	v_add_f16_e32 v6, v37, v60
	v_add_f16_e32 v6, v6, v67
	ds_write_b16 v36, v6
	ds_write_b16 v36, v25 offset:144
	ds_write_b16 v36, v26 offset:288
	v_lshlrev_b32_e32 v6, 1, v31
	v_mul_u32_u24_e32 v9, 0x1b0, v84
	v_add3_u32 v37, 0, v9, v6
	v_add_f16_e32 v6, v42, v68
	v_add_f16_e32 v6, v6, v76
	ds_write_b16 v37, v6
	ds_write_b16 v37, v27 offset:144
	ds_write_b16 v37, v43 offset:288
	v_lshlrev_b32_e32 v6, 1, v29
	v_mul_u32_u24_e32 v9, 0x1b0, v85
	v_add3_u32 v39, 0, v9, v6
	v_add_f16_e32 v6, v40, v21
	v_add_f16_e32 v6, v6, v77
	ds_write_b16 v39, v6
	ds_write_b16 v39, v49 offset:144
	ds_write_b16 v39, v50 offset:288
	v_add_f16_e32 v6, v35, v18
	v_lshlrev_b32_e32 v9, 1, v30
	v_add_f16_e32 v10, v6, v48
	v_add_f16_e32 v6, v34, v17
	v_mul_u32_u24_e32 v11, 0x1b0, v86
	v_add_f16_e32 v6, v6, v46
	v_add3_u32 v35, 0, v11, v9
	v_lshl_add_u32 v40, v28, 1, 0
	ds_write_b16 v35, v10
	ds_write_b16 v35, v51 offset:144
	ds_write_b16 v35, v52 offset:288
	;; [unrolled: 1-line block ×5, first 2 shown]
	s_waitcnt lgkmcnt(0)
	; wave barrier
	s_waitcnt lgkmcnt(0)
	ds_read_u16 v16, v23
	ds_read_u16 v29, v23 offset:126
	ds_read_u16 v31, v23 offset:2286
	;; [unrolled: 1-line block ×20, first 2 shown]
	v_cmp_gt_u32_e64 s[0:1], 27, v0
                                        ; implicit-def: $vgpr10
                                        ; implicit-def: $vgpr9
                                        ; implicit-def: $vgpr11
                                        ; implicit-def: $vgpr12
	s_and_saveexec_b64 s[2:3], s[0:1]
	s_cbranch_execz .LBB0_13
; %bb.12:
	ds_read_u16 v6, v23 offset:378
	ds_read_u16 v7, v23 offset:810
	;; [unrolled: 1-line block ×7, first 2 shown]
.LBB0_13:
	s_or_b64 exec, exec, s[2:3]
	v_add_f16_e32 v82, v81, v57
	v_add_f16_e32 v57, v57, v69
	v_fma_f16 v57, v57, -0.5, v81
	v_sub_f16_e32 v56, v56, v61
	v_fma_f16 v61, v56, s7, v57
	v_fma_f16 v56, v56, s6, v57
	v_add_f16_e32 v57, v45, v62
	v_add_f16_e32 v62, v62, v70
	v_fma_f16 v45, v62, -0.5, v45
	v_sub_f16_e32 v58, v58, v63
	v_add_f16_e32 v63, v64, v72
	v_fma_f16 v62, v58, s7, v45
	v_fma_f16 v45, v58, s6, v45
	v_add_f16_e32 v58, v41, v64
	v_fma_f16 v41, v63, -0.5, v41
	v_sub_f16_e32 v59, v59, v65
	v_add_f16_e32 v65, v73, v78
	v_fma_f16 v63, v59, s7, v41
	v_fma_f16 v41, v59, s6, v41
	v_add_f16_e32 v59, v5, v66
	v_add_f16_e32 v64, v66, v74
	v_fma_f16 v65, v65, -0.5, v75
	v_sub_f16_e32 v66, v68, v76
	v_sub_f16_e32 v60, v60, v67
	v_fma_f16 v67, v66, s7, v65
	v_fma_f16 v65, v66, s6, v65
	v_add_f16_e32 v66, v71, v47
	v_add_f16_e32 v47, v47, v79
	v_fma_f16 v47, v47, -0.5, v71
	v_sub_f16_e32 v21, v21, v77
	v_fma_f16 v68, v21, s7, v47
	v_fma_f16 v21, v21, s6, v47
	v_add_f16_e32 v47, v13, v44
	v_add_f16_e32 v44, v44, v80
	v_fma_f16 v5, v64, -0.5, v5
	v_fma_f16 v13, v44, -0.5, v13
	v_sub_f16_e32 v18, v18, v48
	v_fma_f16 v64, v60, s7, v5
	v_fma_f16 v5, v60, s6, v5
	v_add_f16_e32 v60, v75, v73
	v_fma_f16 v44, v18, s7, v13
	v_fma_f16 v18, v18, s6, v13
	v_add_f16_e32 v13, v20, v14
	v_add_f16_e32 v14, v14, v15
	;; [unrolled: 1-line block ×9, first 2 shown]
	v_fma_f16 v15, v14, -0.5, v20
	v_sub_f16_e32 v17, v17, v46
	v_add_f16_e32 v66, v66, v79
	v_fma_f16 v14, v17, s7, v15
	v_fma_f16 v15, v17, s6, v15
	s_waitcnt lgkmcnt(0)
	; wave barrier
	s_waitcnt lgkmcnt(0)
	ds_write_b16 v23, v82
	ds_write_b16 v23, v61 offset:144
	ds_write_b16 v23, v56 offset:288
	ds_write_b16 v4, v57
	ds_write_b16 v4, v62 offset:144
	ds_write_b16 v4, v45 offset:288
	;; [unrolled: 3-line block ×7, first 2 shown]
	ds_write_b16 v40, v13 offset:2592
	ds_write_b16 v40, v14 offset:2736
	;; [unrolled: 1-line block ×3, first 2 shown]
	s_waitcnt lgkmcnt(0)
	; wave barrier
	s_waitcnt lgkmcnt(0)
	ds_read_u16 v35, v23
	ds_read_u16 v44, v23 offset:126
	ds_read_u16 v56, v23 offset:558
	ds_read_u16 v45, v23 offset:990
	ds_read_u16 v48, v23 offset:1422
	ds_read_u16 v47, v23 offset:1854
	ds_read_u16 v46, v23 offset:2286
	ds_read_u16 v36, v23 offset:864
	ds_read_u16 v59, v23 offset:684
	ds_read_u16 v38, v23 offset:432
	ds_read_u16 v58, v23 offset:252
	ds_read_u16 v37, v23 offset:2160
	ds_read_u16 v60, v23 offset:1980
	ds_read_u16 v39, v23 offset:1728
	ds_read_u16 v62, v23 offset:1548
	ds_read_u16 v40, v23 offset:1296
	ds_read_u16 v61, v23 offset:1116
	ds_read_u16 v57, v23 offset:2718
	ds_read_u16 v64, v23 offset:2844
	ds_read_u16 v41, v23 offset:2592
	ds_read_u16 v63, v23 offset:2412
                                        ; implicit-def: $vgpr18
                                        ; implicit-def: $vgpr17
                                        ; implicit-def: $vgpr20
                                        ; implicit-def: $vgpr21
	s_and_saveexec_b64 s[2:3], s[0:1]
	s_cbranch_execz .LBB0_15
; %bb.14:
	ds_read_u16 v13, v23 offset:378
	ds_read_u16 v14, v23 offset:810
	;; [unrolled: 1-line block ×7, first 2 shown]
.LBB0_15:
	s_or_b64 exec, exec, s[2:3]
	s_and_saveexec_b64 s[2:3], vcc
	s_cbranch_execz .LBB0_18
; %bb.16:
	v_mul_u32_u24_e32 v4, 6, v1
	v_lshlrev_b32_e32 v4, 2, v4
	global_load_dwordx4 v[66:69], v4, s[4:5] offset:856
	global_load_dwordx2 v[74:75], v4, s[4:5] offset:872
	v_mov_b32_e32 v4, 0xfffffe86
	v_mov_b32_e32 v5, 0
	v_mad_u32_u24 v4, v1, 6, v4
	v_lshl_add_u64 v[76:77], v[4:5], 2, s[4:5]
	global_load_dwordx4 v[70:73], v[76:77], off offset:856
	global_load_dwordx2 v[78:79], v[76:77], off offset:872
	s_movk_i32 s3, 0x3574
	s_movk_i32 s12, 0x3a52
	s_mov_b32 s6, 0xbcab
	s_movk_i32 s8, 0x3b00
	s_mov_b32 s10, 0xb9e0
	s_movk_i32 s11, 0x39e0
	s_movk_i32 s2, 0x370e
	s_mov_b32 s9, 0xb574
	s_movk_i32 s7, 0x2b26
	s_waitcnt vmcnt(3) lgkmcnt(12)
	v_mul_f16_sdwa v1, v59, v66 dst_sel:DWORD dst_unused:UNUSED_PAD src0_sel:DWORD src1_sel:WORD_1
	s_waitcnt vmcnt(2) lgkmcnt(2)
	v_mul_f16_sdwa v4, v64, v75 dst_sel:DWORD dst_unused:UNUSED_PAD src0_sel:DWORD src1_sel:WORD_1
	v_mul_f16_sdwa v23, v60, v69 dst_sel:DWORD dst_unused:UNUSED_PAD src0_sel:DWORD src1_sel:WORD_1
	;; [unrolled: 1-line block ×4, first 2 shown]
	s_waitcnt lgkmcnt(0)
	v_mul_f16_sdwa v77, v63, v74 dst_sel:DWORD dst_unused:UNUSED_PAD src0_sel:DWORD src1_sel:WORD_1
	v_mul_f16_sdwa v80, v55, v75 dst_sel:DWORD dst_unused:UNUSED_PAD src0_sel:DWORD src1_sel:WORD_1
	;; [unrolled: 1-line block ×7, first 2 shown]
	v_fma_f16 v1, v50, v66, -v1
	v_fma_f16 v4, v55, v75, -v4
	;; [unrolled: 1-line block ×6, first 2 shown]
	v_fma_f16 v53, v64, v75, v80
	v_fma_f16 v54, v59, v66, v81
	v_fma_f16 v59, v60, v69, v83
	v_fma_f16 v60, v63, v74, v84
	v_fma_f16 v61, v61, v67, v85
	v_fma_f16 v55, v62, v68, v82
	v_sub_f16_e32 v62, v1, v4
	v_sub_f16_e32 v63, v23, v50
	v_add_f16_e32 v65, v54, v53
	v_add_f16_e32 v67, v61, v60
	;; [unrolled: 1-line block ×5, first 2 shown]
	v_sub_f16_e32 v64, v51, v52
	v_add_f16_e32 v66, v59, v55
	v_sub_f16_e32 v50, v54, v53
	v_sub_f16_e32 v51, v59, v55
	;; [unrolled: 1-line block ×3, first 2 shown]
	v_add_f16_e32 v61, v65, v67
	v_add_f16_e32 v69, v1, v23
	v_sub_f16_e32 v53, v62, v63
	v_sub_f16_e32 v54, v63, v64
	v_add_f16_e32 v55, v63, v64
	v_sub_f16_e32 v60, v66, v67
	v_sub_f16_e32 v63, v1, v4
	;; [unrolled: 1-line block ×5, first 2 shown]
	v_add_f16_e32 v51, v51, v52
	v_add_f16_e32 v61, v66, v61
	v_add_f16_e32 v4, v4, v69
	v_sub_f16_e32 v59, v65, v66
	v_sub_f16_e32 v64, v64, v62
	v_mul_f16_e32 v54, 0xb846, v54
	v_mul_f16_e32 v60, 0x2b26, v60
	;; [unrolled: 1-line block ×5, first 2 shown]
	v_add_f16_e32 v51, v50, v51
	v_add_f16_e32 v58, v58, v61
	;; [unrolled: 1-line block ×3, first 2 shown]
	v_sub_f16_e32 v65, v67, v65
	v_sub_f16_e32 v1, v23, v1
	;; [unrolled: 1-line block ×3, first 2 shown]
	v_add_f16_e32 v55, v62, v55
	v_mul_f16_e32 v62, 0x3a52, v59
	v_mul_f16_e32 v75, 0x3b00, v64
	v_fma_f16 v76, v53, s3, v54
	v_fma_f16 v59, v59, s12, v60
	;; [unrolled: 1-line block ×4, first 2 shown]
	v_fma_f16 v23, v1, s10, -v66
	v_mul_f16_e32 v52, 0x3b00, v50
	v_fma_f16 v60, v65, s11, -v60
	v_fma_f16 v54, v64, s8, -v54
	;; [unrolled: 1-line block ×4, first 2 shown]
	v_fma_f16 v77, v74, s3, v69
	v_fma_f16 v53, v53, s9, -v75
	v_fma_f16 v62, v65, s10, -v62
	;; [unrolled: 1-line block ×3, first 2 shown]
	v_add_f16_e32 v60, v60, v61
	v_fma_f16 v54, v55, s2, v54
	v_fma_f16 v50, v51, s2, v50
	v_add_f16_e32 v1, v1, v4
	v_fma_f16 v76, v55, s2, v76
	v_fma_f16 v77, v51, s2, v77
	v_add_f16_e32 v59, v59, v61
	v_fma_f16 v53, v55, s2, v53
	v_add_f16_e32 v62, v62, v61
	v_fma_f16 v52, v51, s2, v52
	v_sub_f16_e32 v55, v60, v54
	v_add_f16_e32 v61, v50, v1
	v_add_f16_e32 v54, v54, v60
	v_sub_f16_e32 v60, v1, v50
	s_waitcnt vmcnt(1)
	v_mul_f16_sdwa v50, v47, v73 dst_sel:DWORD dst_unused:UNUSED_PAD src0_sel:DWORD src1_sel:WORD_1
	v_mul_f16_sdwa v51, v45, v71 dst_sel:DWORD dst_unused:UNUSED_PAD src0_sel:DWORD src1_sel:WORD_1
	v_fma_f16 v63, v63, s12, v68
	v_fma_f16 v65, v32, v73, -v50
	v_mul_f16_sdwa v50, v48, v72 dst_sel:DWORD dst_unused:UNUSED_PAD src0_sel:DWORD src1_sel:WORD_1
	v_fma_f16 v74, v30, v71, -v51
	s_waitcnt vmcnt(0)
	v_mul_f16_sdwa v51, v46, v78 dst_sel:DWORD dst_unused:UNUSED_PAD src0_sel:DWORD src1_sel:WORD_1
	v_add_f16_e32 v63, v63, v4
	v_add_f16_e32 v23, v23, v4
	v_mul_f16_sdwa v1, v56, v70 dst_sel:DWORD dst_unused:UNUSED_PAD src0_sel:DWORD src1_sel:WORD_1
	v_mul_f16_sdwa v4, v57, v79 dst_sel:DWORD dst_unused:UNUSED_PAD src0_sel:DWORD src1_sel:WORD_1
	v_fma_f16 v68, v34, v72, -v50
	v_fma_f16 v75, v31, v78, -v51
	v_add_f16_e32 v80, v76, v59
	v_sub_f16_e32 v59, v59, v76
	v_fma_f16 v1, v42, v70, -v1
	v_fma_f16 v4, v43, v79, -v4
	v_sub_f16_e32 v50, v65, v68
	v_sub_f16_e32 v76, v74, v75
	;; [unrolled: 1-line block ×4, first 2 shown]
	v_mul_f16_sdwa v42, v42, v70 dst_sel:DWORD dst_unused:UNUSED_PAD src0_sel:DWORD src1_sel:WORD_1
	v_sub_f16_e32 v81, v63, v77
	v_add_f16_e32 v63, v77, v63
	v_sub_f16_e32 v69, v64, v50
	v_mul_f16_e32 v77, 0xb846, v51
	v_add_f16_e32 v50, v50, v76
	v_fma_f16 v56, v56, v70, v42
	v_mul_u32_u24_e32 v42, 6, v0
	v_fma_f16 v51, v69, s3, v77
	v_add_f16_e32 v82, v64, v50
	v_mul_f16_sdwa v43, v43, v79 dst_sel:DWORD dst_unused:UNUSED_PAD src0_sel:DWORD src1_sel:WORD_1
	v_lshlrev_b32_e32 v42, 2, v42
	v_add_f16_e32 v67, v53, v62
	v_sub_f16_e32 v66, v23, v52
	v_sub_f16_e32 v62, v62, v53
	v_add_f16_e32 v23, v52, v23
	v_fma_f16 v83, v82, s2, v51
	v_fma_f16 v57, v57, v79, v43
	global_load_dwordx4 v[50:53], v42, s[4:5] offset:856
	v_mul_f16_sdwa v31, v31, v78 dst_sel:DWORD dst_unused:UNUSED_PAD src0_sel:DWORD src1_sel:WORD_1
	global_load_dwordx2 v[42:43], v42, s[4:5] offset:872
	v_mul_f16_sdwa v30, v30, v71 dst_sel:DWORD dst_unused:UNUSED_PAD src0_sel:DWORD src1_sel:WORD_1
	v_mul_f16_sdwa v34, v34, v72 dst_sel:DWORD dst_unused:UNUSED_PAD src0_sel:DWORD src1_sel:WORD_1
	;; [unrolled: 1-line block ×3, first 2 shown]
	v_fma_f16 v31, v46, v78, v31
	v_fma_f16 v30, v45, v71, v30
	v_add_f16_e32 v70, v56, v57
	v_fma_f16 v34, v48, v72, v34
	v_fma_f16 v32, v47, v73, v32
	v_add_f16_e32 v45, v30, v31
	v_add_f16_e32 v1, v1, v4
	;; [unrolled: 1-line block ×7, first 2 shown]
	v_sub_f16_e32 v32, v32, v34
	v_sub_f16_e32 v30, v30, v31
	;; [unrolled: 1-line block ×4, first 2 shown]
	v_add_f16_e32 v47, v47, v71
	v_sub_f16_e32 v65, v1, v4
	v_sub_f16_e32 v74, v4, v73
	v_add_f16_e32 v4, v4, v75
	v_sub_f16_e32 v56, v56, v57
	v_sub_f16_e32 v31, v32, v30
	;; [unrolled: 1-line block ×3, first 2 shown]
	v_mul_f16_e32 v72, 0x3a52, v48
	v_mul_f16_e32 v46, 0x2b26, v46
	v_add_f16_e32 v44, v44, v47
	v_mul_f16_e32 v68, 0x3a52, v65
	v_mul_f16_e32 v74, 0x2b26, v74
	v_add_f16_e32 v29, v29, v4
	v_sub_f16_e32 v34, v56, v32
	v_mul_f16_e32 v31, 0xb846, v31
	v_add_f16_e32 v32, v32, v30
	v_mul_f16_e32 v76, 0x3b00, v64
	v_sub_f16_e32 v45, v45, v70
	v_sub_f16_e32 v1, v73, v1
	;; [unrolled: 1-line block ×3, first 2 shown]
	v_fma_f16 v48, v48, s12, v46
	v_fma_f16 v47, v47, s6, v44
	;; [unrolled: 1-line block ×5, first 2 shown]
	v_add_f16_e32 v32, v56, v32
	v_fma_f16 v69, v69, s9, -v76
	v_fma_f16 v70, v45, s10, -v72
	;; [unrolled: 1-line block ×3, first 2 shown]
	v_mul_f16_e32 v56, 0x3b00, v30
	v_fma_f16 v45, v45, s11, -v46
	v_fma_f16 v46, v64, s8, -v77
	;; [unrolled: 1-line block ×4, first 2 shown]
	v_add_f16_e32 v48, v48, v47
	v_add_f16_e32 v65, v65, v4
	v_fma_f16 v57, v32, s2, v57
	v_fma_f16 v69, v82, s2, v69
	v_add_f16_e32 v70, v70, v47
	v_fma_f16 v34, v34, s9, -v56
	v_add_f16_e32 v45, v45, v47
	v_fma_f16 v46, v82, s2, v46
	v_fma_f16 v30, v32, s2, v30
	v_add_f16_e32 v1, v1, v4
	v_add_f16_e32 v71, v83, v48
	v_sub_f16_e32 v75, v65, v57
	v_add_f16_e32 v72, v69, v70
	v_add_f16_e32 v68, v68, v4
	v_fma_f16 v34, v32, s2, v34
	v_sub_f16_e32 v47, v45, v46
	v_add_f16_e32 v4, v30, v1
	v_add_f16_e32 v31, v46, v45
	v_sub_f16_e32 v30, v1, v30
	v_sub_f16_e32 v32, v70, v69
	v_sub_f16_e32 v45, v48, v83
	v_add_f16_e32 v46, v57, v65
	v_sub_f16_e32 v56, v68, v34
	v_add_f16_e32 v34, v34, v68
	s_waitcnt vmcnt(1)
	v_mul_f16_sdwa v1, v38, v50 dst_sel:DWORD dst_unused:UNUSED_PAD src0_sel:DWORD src1_sel:WORD_1
	v_mul_f16_sdwa v64, v39, v53 dst_sel:DWORD dst_unused:UNUSED_PAD src0_sel:DWORD src1_sel:WORD_1
	s_waitcnt vmcnt(0)
	v_mul_f16_sdwa v48, v41, v43 dst_sel:DWORD dst_unused:UNUSED_PAD src0_sel:DWORD src1_sel:WORD_1
	v_mul_f16_sdwa v65, v40, v52 dst_sel:DWORD dst_unused:UNUSED_PAD src0_sel:DWORD src1_sel:WORD_1
	;; [unrolled: 1-line block ×4, first 2 shown]
	v_fma_f16 v1, v25, v50, -v1
	v_fma_f16 v48, v28, v43, -v48
	;; [unrolled: 1-line block ×6, first 2 shown]
	v_mul_f16_sdwa v28, v28, v43 dst_sel:DWORD dst_unused:UNUSED_PAD src0_sel:DWORD src1_sel:WORD_1
	v_mul_f16_sdwa v25, v25, v50 dst_sel:DWORD dst_unused:UNUSED_PAD src0_sel:DWORD src1_sel:WORD_1
	;; [unrolled: 1-line block ×6, first 2 shown]
	v_sub_f16_e32 v57, v1, v48
	v_fma_f16 v28, v41, v43, v28
	v_fma_f16 v25, v38, v50, v25
	;; [unrolled: 1-line block ×6, first 2 shown]
	v_add_f16_e32 v1, v1, v48
	v_add_f16_e32 v51, v70, v73
	;; [unrolled: 1-line block ×7, first 2 shown]
	v_sub_f16_e32 v26, v26, v27
	v_sub_f16_e32 v19, v19, v24
	;; [unrolled: 1-line block ×4, first 2 shown]
	v_add_f16_e32 v42, v38, v36
	v_sub_f16_e32 v48, v1, v43
	v_sub_f16_e32 v52, v43, v51
	v_add_f16_e32 v43, v43, v53
	v_sub_f16_e32 v25, v25, v28
	v_sub_f16_e32 v24, v26, v19
	;; [unrolled: 1-line block ×4, first 2 shown]
	v_add_f16_e32 v68, v68, v74
	v_sub_f16_e32 v40, v38, v39
	v_sub_f16_e32 v37, v39, v36
	v_add_f16_e32 v39, v39, v42
	v_mul_f16_e32 v50, 0x3a52, v48
	v_mul_f16_e32 v52, 0x2b26, v52
	v_add_f16_e32 v16, v16, v43
	v_sub_f16_e32 v27, v25, v26
	v_mul_f16_e32 v24, 0xb846, v24
	v_add_f16_e32 v26, v26, v19
	v_sub_f16_e32 v1, v51, v1
	v_sub_f16_e32 v19, v19, v25
	v_mul_f16_e32 v76, 0xb846, v76
	v_add_f16_e32 v68, v57, v68
	v_mul_f16_e32 v41, 0x3a52, v40
	v_mul_f16_e32 v37, 0x2b26, v37
	v_add_f16_e32 v35, v35, v39
	v_fma_f16 v43, v43, s6, v16
	v_add_f16_e32 v26, v25, v26
	v_sub_f16_e32 v57, v74, v57
	v_sub_f16_e32 v36, v36, v38
	v_fma_f16 v50, v1, s10, -v50
	v_mul_f16_e32 v25, 0x3b00, v19
	v_fma_f16 v19, v19, s8, -v24
	v_fma_f16 v1, v1, s11, -v52
	v_fma_f16 v77, v69, s3, v76
	v_fma_f16 v40, v40, s12, v37
	;; [unrolled: 1-line block ×5, first 2 shown]
	v_mul_f16_e32 v64, 0x3b00, v57
	v_fma_f16 v38, v36, s10, -v41
	v_fma_f16 v36, v36, s11, -v37
	;; [unrolled: 1-line block ×3, first 2 shown]
	v_fma_f16 v19, v26, s2, v19
	v_add_f16_e32 v1, v1, v43
	v_fma_f16 v77, v68, s2, v77
	v_add_f16_e32 v40, v40, v39
	v_add_f16_e32 v48, v48, v43
	v_fma_f16 v28, v26, s2, v28
	v_fma_f16 v64, v69, s9, -v64
	v_fma_f16 v25, v27, s9, -v25
	v_add_f16_e32 v36, v36, v39
	v_fma_f16 v37, v68, s2, v37
	v_add_f16_e32 v24, v19, v1
	v_sub_f16_e32 v19, v1, v19
	v_mov_b32_e32 v1, v5
	v_sub_f16_e32 v53, v48, v28
	v_fma_f16 v64, v68, s2, v64
	v_add_f16_e32 v38, v38, v39
	v_add_f16_e32 v50, v50, v43
	v_fma_f16 v25, v26, s2, v25
	v_sub_f16_e32 v39, v36, v37
	v_add_f16_e32 v26, v37, v36
	v_sub_f16_e32 v37, v40, v77
	v_add_f16_e32 v28, v28, v48
	v_lshl_add_u64 v[2:3], v[0:1], 2, v[2:3]
	v_pack_b32_f16 v1, v16, v35
	v_sub_f16_e32 v27, v50, v25
	v_sub_f16_e32 v36, v38, v64
	v_add_f16_e32 v25, v25, v50
	global_store_dword v[2:3], v1, off
	v_pack_b32_f16 v1, v28, v37
	global_store_dword v[2:3], v1, off offset:864
	v_pack_b32_f16 v1, v25, v36
	global_store_dword v[2:3], v1, off offset:1728
	v_pack_b32_f16 v1, v19, v26
	s_movk_i32 s12, 0x1000
	v_add_f16_e32 v41, v64, v38
	global_store_dword v[2:3], v1, off offset:2592
	v_pack_b32_f16 v1, v24, v39
	v_add_co_u32_e32 v24, vcc, s12, v2
	v_add_f16_e32 v42, v77, v40
	global_store_dword v[2:3], v1, off offset:3456
	v_pack_b32_f16 v1, v27, v41
	v_addc_co_u32_e32 v25, vcc, 0, v3, vcc
	global_store_dword v[24:25], v1, off offset:224
	v_pack_b32_f16 v1, v53, v42
	global_store_dword v[24:25], v1, off offset:1088
	v_pack_b32_f16 v1, v29, v44
	;; [unrolled: 2-line block ×8, first 2 shown]
	s_mov_b32 s12, 0x97b425f
	global_store_dword v[24:25], v1, off offset:1340
	v_mul_hi_u32 v1, v33, s12
	v_mul_u32_u24_e32 v4, 0x510, v1
	v_lshl_add_u64 v[24:25], v[4:5], 2, v[2:3]
	v_pack_b32_f16 v1, v49, v58
	global_store_dword v[24:25], v1, off offset:504
	v_pack_b32_f16 v1, v63, v59
	global_store_dword v[24:25], v1, off offset:1368
	;; [unrolled: 2-line block ×5, first 2 shown]
	v_add_co_u32_e32 v24, vcc, 0x1000, v24
	v_pack_b32_f16 v1, v66, v67
	s_nop 0
	v_addc_co_u32_e32 v25, vcc, 0, v25, vcc
	global_store_dword v[24:25], v1, off offset:728
	v_pack_b32_f16 v1, v81, v80
	global_store_dword v[24:25], v1, off offset:1592
	s_and_b64 exec, exec, s[0:1]
	s_cbranch_execz .LBB0_18
; %bb.17:
	v_subrev_u32_e32 v0, 27, v0
	v_cndmask_b32_e64 v0, v0, v22, s[0:1]
	v_mul_i32_i24_e32 v4, 6, v0
	v_lshl_add_u64 v[0:1], v[4:5], 2, s[4:5]
	global_load_dwordx4 v[22:25], v[0:1], off offset:856
	global_load_dwordx2 v[4:5], v[0:1], off offset:872
	s_waitcnt vmcnt(1)
	v_mul_f16_sdwa v0, v14, v22 dst_sel:DWORD dst_unused:UNUSED_PAD src0_sel:DWORD src1_sel:WORD_1
	v_mul_f16_sdwa v1, v7, v22 dst_sel:DWORD dst_unused:UNUSED_PAD src0_sel:DWORD src1_sel:WORD_1
	;; [unrolled: 1-line block ×4, first 2 shown]
	s_waitcnt vmcnt(0)
	v_mul_f16_sdwa v30, v20, v4 dst_sel:DWORD dst_unused:UNUSED_PAD src0_sel:DWORD src1_sel:WORD_1
	v_mul_f16_sdwa v31, v11, v4 dst_sel:DWORD dst_unused:UNUSED_PAD src0_sel:DWORD src1_sel:WORD_1
	;; [unrolled: 1-line block ×8, first 2 shown]
	v_fma_f16 v0, v7, v22, -v0
	v_fma_f16 v1, v14, v22, v1
	v_fma_f16 v7, v8, v23, -v16
	v_fma_f16 v8, v15, v23, v19
	;; [unrolled: 2-line block ×6, first 2 shown]
	v_add_f16_e32 v16, v0, v9
	v_add_f16_e32 v17, v1, v5
	v_sub_f16_e32 v0, v0, v9
	v_sub_f16_e32 v1, v1, v5
	v_add_f16_e32 v5, v7, v11
	v_add_f16_e32 v9, v8, v4
	v_sub_f16_e32 v7, v7, v11
	v_sub_f16_e32 v4, v8, v4
	;; [unrolled: 4-line block ×4, first 2 shown]
	v_sub_f16_e32 v16, v16, v8
	v_sub_f16_e32 v17, v17, v11
	;; [unrolled: 1-line block ×4, first 2 shown]
	v_add_f16_e32 v20, v10, v7
	v_add_f16_e32 v21, v12, v4
	v_sub_f16_e32 v22, v10, v7
	v_sub_f16_e32 v23, v12, v4
	v_sub_f16_e32 v7, v7, v0
	v_add_f16_e32 v8, v8, v14
	v_add_f16_e32 v11, v11, v15
	v_sub_f16_e32 v10, v0, v10
	v_sub_f16_e32 v12, v1, v12
	;; [unrolled: 1-line block ×3, first 2 shown]
	v_add_f16_e32 v0, v20, v0
	v_add_f16_e32 v1, v21, v1
	v_mul_f16_e32 v14, 0x3a52, v16
	v_mul_f16_e32 v15, 0x3a52, v17
	;; [unrolled: 1-line block ×7, first 2 shown]
	v_add_f16_e32 v6, v6, v8
	v_add_f16_e32 v13, v13, v11
	v_mul_f16_e32 v23, 0x3b00, v4
	v_fma_f16 v5, v5, s7, v14
	v_fma_f16 v9, v9, s7, v15
	v_fma_f16 v16, v18, s11, -v16
	v_fma_f16 v17, v19, s11, -v17
	;; [unrolled: 1-line block ×4, first 2 shown]
	v_fma_f16 v18, v10, s3, v20
	v_fma_f16 v19, v12, s3, v21
	v_fma_f16 v7, v7, s8, -v20
	v_fma_f16 v10, v10, s9, -v22
	v_fma_f16 v8, v8, s6, v6
	v_fma_f16 v11, v11, s6, v13
	v_fma_f16 v4, v4, s8, -v21
	v_fma_f16 v12, v12, s9, -v23
	v_add_f16_e32 v5, v5, v8
	v_add_f16_e32 v9, v9, v11
	;; [unrolled: 1-line block ×6, first 2 shown]
	v_fma_f16 v14, v0, s2, v18
	v_fma_f16 v15, v1, s2, v19
	;; [unrolled: 1-line block ×6, first 2 shown]
	v_add_f16_e32 v10, v15, v5
	v_sub_f16_e32 v12, v9, v14
	v_sub_f16_e32 v19, v11, v0
	v_add_f16_e32 v11, v0, v11
	v_pack_b32_f16 v0, v6, v13
	v_add_f16_e32 v18, v1, v8
	global_store_dword v[2:3], v0, off offset:756
	v_pack_b32_f16 v0, v10, v12
	v_sub_f16_e32 v20, v16, v4
	v_add_f16_e32 v21, v7, v17
	global_store_dword v[2:3], v0, off offset:1620
	v_pack_b32_f16 v0, v18, v19
	global_store_dword v[2:3], v0, off offset:2484
	v_pack_b32_f16 v0, v20, v21
	v_sub_f16_e32 v8, v8, v1
	global_store_dword v[2:3], v0, off offset:3348
	v_add_co_u32_e32 v0, vcc, 0x1000, v2
	v_add_f16_e32 v4, v4, v16
	v_sub_f16_e32 v7, v17, v7
	v_sub_f16_e32 v5, v5, v15
	v_add_f16_e32 v9, v14, v9
	v_addc_co_u32_e32 v1, vcc, 0, v3, vcc
	v_pack_b32_f16 v2, v8, v11
	v_pack_b32_f16 v4, v4, v7
	global_store_dword v[0:1], v2, off offset:980
	v_pack_b32_f16 v2, v5, v9
	global_store_dword v[0:1], v4, off offset:116
	global_store_dword v[0:1], v2, off offset:1844
.LBB0_18:
	s_endpgm
	.section	.rodata,"a",@progbits
	.p2align	6, 0x0
	.amdhsa_kernel fft_rtc_fwd_len1512_factors_2_2_2_3_3_3_7_wgs_63_tpt_63_halfLds_half_ip_CI_unitstride_sbrr_dirReg
		.amdhsa_group_segment_fixed_size 0
		.amdhsa_private_segment_fixed_size 0
		.amdhsa_kernarg_size 88
		.amdhsa_user_sgpr_count 2
		.amdhsa_user_sgpr_dispatch_ptr 0
		.amdhsa_user_sgpr_queue_ptr 0
		.amdhsa_user_sgpr_kernarg_segment_ptr 1
		.amdhsa_user_sgpr_dispatch_id 0
		.amdhsa_user_sgpr_kernarg_preload_length 0
		.amdhsa_user_sgpr_kernarg_preload_offset 0
		.amdhsa_user_sgpr_private_segment_size 0
		.amdhsa_uses_dynamic_stack 0
		.amdhsa_enable_private_segment 0
		.amdhsa_system_sgpr_workgroup_id_x 1
		.amdhsa_system_sgpr_workgroup_id_y 0
		.amdhsa_system_sgpr_workgroup_id_z 0
		.amdhsa_system_sgpr_workgroup_info 0
		.amdhsa_system_vgpr_workitem_id 0
		.amdhsa_next_free_vgpr 99
		.amdhsa_next_free_sgpr 22
		.amdhsa_accum_offset 100
		.amdhsa_reserve_vcc 1
		.amdhsa_float_round_mode_32 0
		.amdhsa_float_round_mode_16_64 0
		.amdhsa_float_denorm_mode_32 3
		.amdhsa_float_denorm_mode_16_64 3
		.amdhsa_dx10_clamp 1
		.amdhsa_ieee_mode 1
		.amdhsa_fp16_overflow 0
		.amdhsa_tg_split 0
		.amdhsa_exception_fp_ieee_invalid_op 0
		.amdhsa_exception_fp_denorm_src 0
		.amdhsa_exception_fp_ieee_div_zero 0
		.amdhsa_exception_fp_ieee_overflow 0
		.amdhsa_exception_fp_ieee_underflow 0
		.amdhsa_exception_fp_ieee_inexact 0
		.amdhsa_exception_int_div_zero 0
	.end_amdhsa_kernel
	.text
.Lfunc_end0:
	.size	fft_rtc_fwd_len1512_factors_2_2_2_3_3_3_7_wgs_63_tpt_63_halfLds_half_ip_CI_unitstride_sbrr_dirReg, .Lfunc_end0-fft_rtc_fwd_len1512_factors_2_2_2_3_3_3_7_wgs_63_tpt_63_halfLds_half_ip_CI_unitstride_sbrr_dirReg
                                        ; -- End function
	.section	.AMDGPU.csdata,"",@progbits
; Kernel info:
; codeLenInByte = 17340
; NumSgprs: 28
; NumVgprs: 99
; NumAgprs: 0
; TotalNumVgprs: 99
; ScratchSize: 0
; MemoryBound: 0
; FloatMode: 240
; IeeeMode: 1
; LDSByteSize: 0 bytes/workgroup (compile time only)
; SGPRBlocks: 3
; VGPRBlocks: 12
; NumSGPRsForWavesPerEU: 28
; NumVGPRsForWavesPerEU: 99
; AccumOffset: 100
; Occupancy: 4
; WaveLimiterHint : 1
; COMPUTE_PGM_RSRC2:SCRATCH_EN: 0
; COMPUTE_PGM_RSRC2:USER_SGPR: 2
; COMPUTE_PGM_RSRC2:TRAP_HANDLER: 0
; COMPUTE_PGM_RSRC2:TGID_X_EN: 1
; COMPUTE_PGM_RSRC2:TGID_Y_EN: 0
; COMPUTE_PGM_RSRC2:TGID_Z_EN: 0
; COMPUTE_PGM_RSRC2:TIDIG_COMP_CNT: 0
; COMPUTE_PGM_RSRC3_GFX90A:ACCUM_OFFSET: 24
; COMPUTE_PGM_RSRC3_GFX90A:TG_SPLIT: 0
	.text
	.p2alignl 6, 3212836864
	.fill 256, 4, 3212836864
	.type	__hip_cuid_6cd4c45ff38541c7,@object ; @__hip_cuid_6cd4c45ff38541c7
	.section	.bss,"aw",@nobits
	.globl	__hip_cuid_6cd4c45ff38541c7
__hip_cuid_6cd4c45ff38541c7:
	.byte	0                               ; 0x0
	.size	__hip_cuid_6cd4c45ff38541c7, 1

	.ident	"AMD clang version 19.0.0git (https://github.com/RadeonOpenCompute/llvm-project roc-6.4.0 25133 c7fe45cf4b819c5991fe208aaa96edf142730f1d)"
	.section	".note.GNU-stack","",@progbits
	.addrsig
	.addrsig_sym __hip_cuid_6cd4c45ff38541c7
	.amdgpu_metadata
---
amdhsa.kernels:
  - .agpr_count:     0
    .args:
      - .actual_access:  read_only
        .address_space:  global
        .offset:         0
        .size:           8
        .value_kind:     global_buffer
      - .offset:         8
        .size:           8
        .value_kind:     by_value
      - .actual_access:  read_only
        .address_space:  global
        .offset:         16
        .size:           8
        .value_kind:     global_buffer
      - .actual_access:  read_only
        .address_space:  global
        .offset:         24
        .size:           8
        .value_kind:     global_buffer
      - .offset:         32
        .size:           8
        .value_kind:     by_value
      - .actual_access:  read_only
        .address_space:  global
        .offset:         40
        .size:           8
        .value_kind:     global_buffer
      - .actual_access:  read_only
        .address_space:  global
        .offset:         48
        .size:           8
        .value_kind:     global_buffer
      - .offset:         56
        .size:           4
        .value_kind:     by_value
      - .actual_access:  read_only
        .address_space:  global
        .offset:         64
        .size:           8
        .value_kind:     global_buffer
      - .actual_access:  read_only
        .address_space:  global
        .offset:         72
        .size:           8
        .value_kind:     global_buffer
      - .address_space:  global
        .offset:         80
        .size:           8
        .value_kind:     global_buffer
    .group_segment_fixed_size: 0
    .kernarg_segment_align: 8
    .kernarg_segment_size: 88
    .language:       OpenCL C
    .language_version:
      - 2
      - 0
    .max_flat_workgroup_size: 63
    .name:           fft_rtc_fwd_len1512_factors_2_2_2_3_3_3_7_wgs_63_tpt_63_halfLds_half_ip_CI_unitstride_sbrr_dirReg
    .private_segment_fixed_size: 0
    .sgpr_count:     28
    .sgpr_spill_count: 0
    .symbol:         fft_rtc_fwd_len1512_factors_2_2_2_3_3_3_7_wgs_63_tpt_63_halfLds_half_ip_CI_unitstride_sbrr_dirReg.kd
    .uniform_work_group_size: 1
    .uses_dynamic_stack: false
    .vgpr_count:     99
    .vgpr_spill_count: 0
    .wavefront_size: 64
amdhsa.target:   amdgcn-amd-amdhsa--gfx950
amdhsa.version:
  - 1
  - 2
...

	.end_amdgpu_metadata
